;; amdgpu-corpus repo=ROCm/aiter kind=harvested arch=n/a opt=n/a

/root/src/amdgpu-assembly/repos/ROCm__aiter/hsa/gfx942/fmha_v3_bwd/bwd_hd64_fp16_causal_br_a32_pssk.co:	file format elf64-amdgpu

Disassembly of section .text:

0000000000003e00 <_ZN5aiter37fmha_bwd_hd64_fp16_causal_br_a32_psskE>:
	s_and_b32 s1, s1, 0xffff                                   // 000000003E00: 8601FF01 0000FFFF
	s_load_dwordx2 s[32:33], s[0:1], 0x0                       // 000000003E08: C0060800 00000000
	s_load_dwordx2 s[36:37], s[0:1], 0x10                      // 000000003E10: C0060900 00000010
	s_load_dwordx2 s[40:41], s[0:1], 0x20                      // 000000003E18: C0060A00 00000020
	s_load_dwordx2 s[8:9], s[0:1], 0x30                        // 000000003E20: C0060200 00000030
	s_load_dwordx2 s[12:13], s[0:1], 0x40                      // 000000003E28: C0060300 00000040
	s_load_dwordx2 s[16:17], s[0:1], 0x50                      // 000000003E30: C0060400 00000050
	s_load_dwordx2 s[20:21], s[0:1], 0x60                      // 000000003E38: C0060500 00000060
	s_load_dwordx2 s[24:25], s[0:1], 0x70                      // 000000003E40: C0060600 00000070
	s_load_dwordx2 s[28:29], s[0:1], 0x80                      // 000000003E48: C0060700 00000080
	s_load_dword s47, s[0:1], 0x90                             // 000000003E50: C0020BC0 00000090
	s_load_dword s48, s[0:1], 0xa0                             // 000000003E58: C0020C00 000000A0
	s_load_dword s49, s[0:1], 0xb0                             // 000000003E60: C0020C40 000000B0
	s_load_dword s78, s[0:1], 0xd0                             // 000000003E68: C0021380 000000D0
	s_load_dword s79, s[0:1], 0xe0                             // 000000003E70: C00213C0 000000E0
	s_load_dword s5, s[0:1], 0xf0                              // 000000003E78: C0020140 000000F0
	s_load_dword s44, s[0:1], 0x100                            // 000000003E80: C0020B00 00000100
	s_load_dword s88, s[0:1], 0x110                            // 000000003E88: C0021600 00000110
	s_load_dword s89, s[0:1], 0x120                            // 000000003E90: C0021640 00000120
	s_load_dword s6, s[0:1], 0x130                             // 000000003E98: C0020180 00000130
	s_load_dword s52, s[0:1], 0x140                            // 000000003EA0: C0020D00 00000140
	s_load_dword s50, s[0:1], 0x150                            // 000000003EA8: C0020C80 00000150
	s_load_dword s100, s[0:1], 0x180                           // 000000003EB0: C0021900 00000180
	s_load_dword s90, s[0:1], 0x190                            // 000000003EB8: C0021680 00000190
	s_load_dword s91, s[0:1], 0x1a0                            // 000000003EC0: C00216C0 000001A0
	s_load_dword s7, s[0:1], 0x1b0                             // 000000003EC8: C00201C0 000001B0
	s_load_dword s92, s[0:1], 0x1c0                            // 000000003ED0: C0021700 000001C0
	s_load_dword s93, s[0:1], 0x1d0                            // 000000003ED8: C0021740 000001D0
	s_load_dword s51, s[0:1], 0x1e0                            // 000000003EE0: C0020CC0 000001E0
	s_load_dword s94, s[0:1], 0x1f0                            // 000000003EE8: C0021780 000001F0
	s_load_dword s95, s[0:1], 0x200                            // 000000003EF0: C00217C0 00000200
	s_load_dword s96, s[0:1], 0x210                            // 000000003EF8: C0021800 00000210
	s_load_dword s97, s[0:1], 0x220                            // 000000003F00: C0021840 00000220
	s_load_dword s53, s[0:1], 0x230                            // 000000003F08: C0020D40 00000230
	v_lshrrev_b32_e32 v1, 10, v0                               // 000000003F10: 2002008A
	v_lshrrev_b32_e32 v2, 10, v1                               // 000000003F14: 2004028A
	v_and_b32_e32 v2, 0x3ff, v2                                // 000000003F18: 260404FF 000003FF
	v_and_b32_e32 v1, 0x3ff, v1                                // 000000003F20: 260202FF 000003FF
	v_and_b32_e32 v0, 0x3ff, v0                                // 000000003F28: 260000FF 000003FF
	v_lshrrev_b32_e32 v3, 6, v0                                // 000000003F30: 20060086
	v_and_b32_e32 v0, 63, v0                                   // 000000003F34: 260000BF
	s_mov_b32 s2, s2                                           // 000000003F38: BE820002
	s_mov_b32 s3, s3                                           // 000000003F3C: BE830003
	s_mov_b32 s4, s4                                           // 000000003F40: BE840004
	v_readfirstlane_b32 s46, v3                                // 000000003F44: 7E5C0503
	s_waitcnt lgkmcnt(0)                                       // 000000003F48: BF8CC07F
	s_mov_b32 s11, 0x20000                                     // 000000003F4C: BE8B00FF 00020000
	s_mov_b32 s15, 0x20000                                     // 000000003F54: BE8F00FF 00020000
	s_mov_b32 s19, 0x20000                                     // 000000003F5C: BE9300FF 00020000
	s_mov_b32 s23, 0x20000                                     // 000000003F64: BE9700FF 00020000
	s_mov_b32 s27, 0x20000                                     // 000000003F6C: BE9B00FF 00020000
	s_mov_b32 s31, 0x20000                                     // 000000003F74: BE9F00FF 00020000
	s_mov_b32 s35, 0x20000                                     // 000000003F7C: BEA300FF 00020000
	s_mov_b32 s39, 0x20000                                     // 000000003F84: BEA700FF 00020000
	s_mov_b32 s43, 0x20000                                     // 000000003F8C: BEAB00FF 00020000
	s_and_b32 s9, s9, 0xffff                                   // 000000003F94: 8609FF09 0000FFFF
	s_and_b32 s13, s13, 0xffff                                 // 000000003F9C: 860DFF0D 0000FFFF
	s_and_b32 s17, s17, 0xffff                                 // 000000003FA4: 8611FF11 0000FFFF
	s_and_b32 s21, s21, 0xffff                                 // 000000003FAC: 8615FF15 0000FFFF
	s_and_b32 s25, s25, 0xffff                                 // 000000003FB4: 8619FF19 0000FFFF
	s_and_b32 s29, s29, 0xffff                                 // 000000003FBC: 861DFF1D 0000FFFF
	s_and_b32 s33, s33, 0xffff                                 // 000000003FC4: 8621FF21 0000FFFF
	s_and_b32 s37, s37, 0xffff                                 // 000000003FCC: 8625FF25 0000FFFF
	s_and_b32 s41, s41, 0xffff                                 // 000000003FD4: 8629FF29 0000FFFF
	s_or_b32 s9, s9, 0x40000                                   // 000000003FDC: 8709FF09 00040000
	s_or_b32 s13, s13, 0x40000                                 // 000000003FE4: 870DFF0D 00040000
	s_or_b32 s17, s17, 0x40000                                 // 000000003FEC: 8711FF11 00040000
	s_or_b32 s21, s21, 0x40000                                 // 000000003FF4: 8715FF15 00040000
	s_or_b32 s25, s25, 0x40000                                 // 000000003FFC: 8719FF19 00040000
	s_or_b32 s29, s29, 0x40000                                 // 000000004004: 871DFF1D 00040000
	s_or_b32 s33, s33, 0x40000                                 // 00000000400C: 8721FF21 00040000
	s_or_b32 s37, s37, 0x40000                                 // 000000004014: 8725FF25 00040000
	s_or_b32 s41, s41, 0x40000                                 // 00000000401C: 8729FF29 00040000
	v_accvgpr_write_b32 a159, 0                                // 000000004024: D3D9409F 18000080
	v_mov_b32_e32 v232, 0                                      // 00000000402C: 7FD00280
	s_mov_b32 s71, s3                                          // 000000004030: BEC70003
	v_cvt_f32_u32_e32 v32, s44                                 // 000000004034: 7E400C2C
	s_sub_i32 s60, 0, s44                                      // 000000004038: 81BC2C80
	v_rcp_iflag_f32_e32 v32, v32                               // 00000000403C: 7E404720
	s_nop 0                                                    // 000000004040: BF800000
	v_mul_f32_e32 v32, 0x4f7ffffe, v32                         // 000000004044: 0A4040FF 4F7FFFFE
	v_cvt_u32_f32_e32 v32, v32                                 // 00000000404C: 7E400F20
	v_mul_lo_u32 v33, s60, v32                                 // 000000004050: D2850021 0002403C
	v_mul_hi_u32 v33, v32, v33                                 // 000000004058: D2860021 00024320
	v_add_u32_e32 v32, v32, v33                                // 000000004060: 68404320
	v_mul_hi_u32 v32, s71, v32                                 // 000000004064: D2860020 00024047
	v_mul_lo_u32 v33, v32, s44                                 // 00000000406C: D2850021 00005920
	v_sub_u32_e32 v35, s71, v33                                // 000000004074: 6A464247
	v_add_u32_e32 v34, 1, v32                                  // 000000004078: 68444081
	v_cmp_le_u32_e32 vcc, s44, v35                             // 00000000407C: 7D96462C
	v_subrev_u32_e32 v33, s44, v35                             // 000000004080: 6C42462C
	s_nop 0                                                    // 000000004084: BF800000
	v_cndmask_b32_e32 v32, v32, v34, vcc                       // 000000004088: 00404520
	v_cndmask_b32_e32 v35, v35, v33, vcc                       // 00000000408C: 00464323
	v_add_u32_e32 v33, 1, v32                                  // 000000004090: 68424081
	v_cmp_le_u32_e32 vcc, s44, v35                             // 000000004094: 7D96462C
	s_nop 1                                                    // 000000004098: BF800001
	v_cndmask_b32_e32 v35, v32, v33, vcc                       // 00000000409C: 00464320
	s_nop 3                                                    // 0000000040A0: BF800003
	v_readfirstlane_b32 s45, v35                               // 0000000040A4: 7E5A0523
	s_nop 3                                                    // 0000000040A8: BF800003
	s_mul_i32 s61, s45, s88                                    // 0000000040AC: 923D582D
	s_mov_b32 s54, s61                                         // 0000000040B0: BEB6003D
	s_add_u32 s12, s54, s12                                    // 0000000040B4: 800C0C36
	s_addc_u32 s13, 0, s13                                     // 0000000040B8: 820D0D80
	s_mul_i32 s60, s4, s89                                     // 0000000040BC: 923C5904
	s_mul_hi_u32 s61, s4, s89                                  // 0000000040C0: 963D5904
	s_and_b32 s61, s61, 0xffff                                 // 0000000040C4: 863DFF3D 0000FFFF
	s_add_u32 s12, s12, s60                                    // 0000000040CC: 800C3C0C
	s_addc_u32 s13, s13, s61                                   // 0000000040D0: 820D3D0D
	s_mul_i32 s61, s45, s90                                    // 0000000040D4: 923D5A2D
	s_mov_b32 s54, s61                                         // 0000000040D8: BEB6003D
	s_add_u32 s16, s54, s16                                    // 0000000040DC: 80101036
	s_addc_u32 s17, 0, s17                                     // 0000000040E0: 82111180
	s_mul_i32 s60, s4, s91                                     // 0000000040E4: 923C5B04
	s_mul_hi_u32 s61, s4, s91                                  // 0000000040E8: 963D5B04
	s_and_b32 s61, s61, 0xffff                                 // 0000000040EC: 863DFF3D 0000FFFF
	s_add_u32 s16, s16, s60                                    // 0000000040F4: 80103C10
	s_addc_u32 s17, s17, s61                                   // 0000000040F8: 82113D11
	s_mul_i32 s61, s3, s78                                     // 0000000040FC: 923D4E03
	s_mov_b32 s55, s61                                         // 000000004100: BEB7003D
	s_add_u32 s8, s55, s8                                      // 000000004104: 80080837
	s_addc_u32 s9, 0, s9                                       // 000000004108: 82090980
	s_mul_i32 s60, s4, s79                                     // 00000000410C: 923C4F04
	s_mul_hi_u32 s61, s4, s79                                  // 000000004110: 963D4F04
	s_and_b32 s61, s61, 0xffff                                 // 000000004114: 863DFF3D 0000FFFF
	s_add_u32 s8, s8, s60                                      // 00000000411C: 80083C08
	s_addc_u32 s9, s9, s61                                     // 000000004120: 82093D09
	s_mul_i32 s61, s3, s92                                     // 000000004124: 923D5C03
	s_mov_b32 s56, s61                                         // 000000004128: BEB8003D
	s_add_u32 s20, s56, s20                                    // 00000000412C: 80141438
	s_addc_u32 s21, 0, s21                                     // 000000004130: 82151580
	s_mul_i32 s60, s4, s93                                     // 000000004134: 923C5D04
	s_mul_hi_u32 s61, s4, s93                                  // 000000004138: 963D5D04
	s_and_b32 s61, s61, 0xffff                                 // 00000000413C: 863DFF3D 0000FFFF
	s_add_u32 s20, s20, s60                                    // 000000004144: 80143C14
	s_addc_u32 s21, s21, s61                                   // 000000004148: 82153D15
	s_mul_i32 s62, s4, s100                                    // 00000000414C: 923E6404
	s_mul_i32 s62, s62, s49                                    // 000000004150: 923E313E
	s_lshl_b32 s62, s62, 2                                     // 000000004154: 8E3E823E
	s_mul_i32 s61, s3, s49                                     // 000000004158: 923D3103
	s_mul_i32 s61, 4, s61                                      // 00000000415C: 923D3D84
	s_add_u32 s65, s61, s62                                    // 000000004160: 80413E3D
	s_mov_b32 s26, s49                                         // 000000004164: BE9A0031
	s_mov_b32 s30, s49                                         // 000000004168: BE9E0031
	s_add_u32 s24, s65, s24                                    // 00000000416C: 80181841
	s_addc_u32 s25, 0, s25                                     // 000000004170: 82191980
	s_add_u32 s28, s65, s28                                    // 000000004174: 801C1C41
	s_addc_u32 s29, 0, s29                                     // 000000004178: 821D1D80
	s_mul_i32 s61, s3, s94                                     // 00000000417C: 923D5E03
	s_mul_i32 s62, s4, s95                                     // 000000004180: 923E5F04
	s_add_u32 s60, s61, s62                                    // 000000004184: 803C3E3D
	s_mul_hi_u32 s61, s4, s95                                  // 000000004188: 963D5F04
	s_and_b32 s61, s61, 0xffff                                 // 00000000418C: 863DFF3D 0000FFFF
	s_add_u32 s36, s60, s36                                    // 000000004194: 8024243C
	s_addc_u32 s37, s61, s37                                   // 000000004198: 8225253D
	s_mul_i32 s60, s50, s52                                    // 00000000419C: 923C3432
	s_lshr_b32 s60, s60, 2                                     // 0000000041A0: 8F3C823C
	s_mov_b32 s38, s60                                         // 0000000041A4: BEA6003C
	s_mul_i32 s61, s3, s96                                     // 0000000041A8: 923D6003
	s_mul_i32 s62, s4, s97                                     // 0000000041AC: 923E6104
	s_add_u32 s60, s61, s62                                    // 0000000041B0: 803C3E3D
	s_mul_hi_u32 s61, s4, s97                                  // 0000000041B4: 963D6104
	s_and_b32 s61, s61, 0xffff                                 // 0000000041B8: 863DFF3D 0000FFFF
	s_add_u32 s40, s60, s40                                    // 0000000041C0: 8028283C
	s_addc_u32 s41, s61, s41                                   // 0000000041C4: 8229293D
	s_mul_i32 s60, s50, s53                                    // 0000000041C8: 923C3532
	s_lshr_b32 s60, s60, 2                                     // 0000000041CC: 8F3C823C
	s_mov_b32 s42, s60                                         // 0000000041D0: BEAA003C
	s_mul_i32 s60, 64, s65                                     // 0000000041D4: 923C41C0
	s_mul_hi_u32 s61, 64, s65                                  // 0000000041D8: 963D41C0
	s_and_b32 s61, s61, 0xffff                                 // 0000000041DC: 863DFF3D 0000FFFF
	s_add_u32 s32, s60, s32                                    // 0000000041E4: 8020203C
	s_addc_u32 s33, s61, s33                                   // 0000000041E8: 8221213D
	s_mul_i32 s60, 64, s49                                     // 0000000041EC: 923C31C0
	s_mov_b32 s34, s60                                         // 0000000041F0: BEA2003C
	s_mov_b32 s80, s8                                          // 0000000041F4: BED00008
	s_mov_b32 s82, s12                                         // 0000000041F8: BED2000C
	s_mov_b32 s84, s16                                         // 0000000041FC: BED40010
	s_mov_b32 s86, s20                                         // 000000004200: BED60014
	s_mov_b32 s81, s9                                          // 000000004204: BED10009
	s_mov_b32 s83, s13                                         // 000000004208: BED3000D
	s_mov_b32 s85, s17                                         // 00000000420C: BED50011
	s_mov_b32 s87, s21                                         // 000000004210: BED70015
	s_add_u32 s71, 0xbf, s50                                   // 000000004214: 804732FF 000000BF
	s_mov_b32 s74, 0xc0                                        // 00000000421C: BECA00FF 000000C0
	v_cvt_f32_u32_e32 v32, s74                                 // 000000004224: 7E400C4A
	s_sub_i32 s60, 0, s74                                      // 000000004228: 81BC4A80
	v_rcp_iflag_f32_e32 v32, v32                               // 00000000422C: 7E404720
	s_nop 0                                                    // 000000004230: BF800000
	v_mul_f32_e32 v32, 0x4f7ffffe, v32                         // 000000004234: 0A4040FF 4F7FFFFE
	v_cvt_u32_f32_e32 v32, v32                                 // 00000000423C: 7E400F20
	v_mul_lo_u32 v33, s60, v32                                 // 000000004240: D2850021 0002403C
	v_mul_hi_u32 v33, v32, v33                                 // 000000004248: D2860021 00024320
	v_add_u32_e32 v32, v32, v33                                // 000000004250: 68404320
	v_mul_hi_u32 v32, s71, v32                                 // 000000004254: D2860020 00024047
	v_mul_lo_u32 v33, v32, s74                                 // 00000000425C: D2850021 00009520
	v_sub_u32_e32 v35, s71, v33                                // 000000004264: 6A464247
	v_add_u32_e32 v34, 1, v32                                  // 000000004268: 68444081
	v_cmp_le_u32_e32 vcc, s74, v35                             // 00000000426C: 7D96464A
	v_subrev_u32_e32 v33, s74, v35                             // 000000004270: 6C42464A
	s_nop 0                                                    // 000000004274: BF800000
	v_cndmask_b32_e32 v32, v32, v34, vcc                       // 000000004278: 00404520
	v_cndmask_b32_e32 v35, v35, v33, vcc                       // 00000000427C: 00464323
	v_add_u32_e32 v33, 1, v32                                  // 000000004280: 68424081
	v_cmp_le_u32_e32 vcc, s74, v35                             // 000000004284: 7D96464A
	s_nop 1                                                    // 000000004288: BF800001
	v_cndmask_b32_e32 v35, v32, v33, vcc                       // 00000000428C: 00464320
	s_nop 3                                                    // 000000004290: BF800003
	v_readfirstlane_b32 s77, v35                               // 000000004294: 7E9A0523
	s_nop 3                                                    // 000000004298: BF800003
	v_mov_b32_e32 v32, s47                                     // 00000000429C: 7E40022F
	v_mul_f32_e32 v32, s48, v32                                // 0000000042A0: 0A404030
	s_mov_b32 s58, s49                                         // 0000000042A4: BEBA0031
	s_mov_b32 s59, 0                                           // 0000000042A8: BEBB0080
	s_mov_b32 s63, 0x5040100                                   // 0000000042AC: BEBF00FF 05040100
	s_mov_b32 s64, 0x7060302                                   // 0000000042B4: BEC000FF 07060302
	v_readfirstlane_b32 s57, v32                               // 0000000042BC: 7E720520
	v_mov_b32_e32 v34, 0x3020706                               // 0000000042C0: 7E4402FF 03020706
	v_mov_b32_e32 v32, s63                                     // 0000000042C8: 7E40023F
	v_and_b32_e32 v33, 1, v0                                   // 0000000042CC: 26420081
	v_cmp_eq_u32_e32 vcc, 1, v33                               // 0000000042D0: 7D944281
	s_mov_b32 s67, 0x800                                       // 0000000042D4: BEC300FF 00000800
	v_cndmask_b32_e32 v17, v32, v34, vcc                       // 0000000042DC: 00224520
	s_cmp_lt_u32 s46, 2                                        // 0000000042E0: BF0A822E
	s_cselect_b32 s24, s24, s28                                // 0000000042E4: 85181C18
	s_cselect_b32 s25, s25, s29                                // 0000000042E8: 85191D19
	s_cselect_b32 s26, s26, s30                                // 0000000042EC: 851A1E1A
	s_cselect_b32 s27, s27, s31                                // 0000000042F0: 851B1F1B
	s_lshr_b32 s60, s46, 1                                     // 0000000042F4: 8F3C812E
	s_lshl_b32 s60, s60, 8                                     // 0000000042F8: 8E3C883C
	s_add_u32 s78, 0x9a00, s60                                 // 0000000042FC: 804E3CFF 00009A00
	s_add_u32 s79, 0x200, s78                                  // 000000004304: 804F4EFF 00000200
	s_mov_b32 m0, s78                                          // 00000000430C: BEFC004E
	s_mov_b32 s75, 0                                           // 000000004310: BECB0080
	s_mov_b32 s76, 1                                           // 000000004314: BECC0081
	s_lshl_b32 s60, s2, 1                                      // 000000004318: 8E3C8102
	s_add_u32 s60, 1, s60                                      // 00000000431C: 803C3C81
	s_cmp_ge_i32 s60, s77                                      // 000000004320: BF034D3C
	s_cselect_b32 s76, s76, 2                                  // 000000004324: 854C824C

0000000000004328 <label_014A>:
	s_mov_b32 m0, s78                                          // 000000004328: BEFC004E
	s_mov_b32 s66, 0                                           // 00000000432C: BEC20080
	v_mov_b32_e32 v178, 0xff800000                             // 000000004330: 7F6402FF FF800000
	s_mov_b32 s74, 0                                           // 000000004338: BECA0080
	s_mul_i32 s68, 8, s5                                       // 00000000433C: 92440588
	s_mul_i32 s99, 8, s51                                      // 000000004340: 92633388
	s_mov_b32 s69, 32                                          // 000000004344: BEC500A0
	s_mul_i32 s93, 0xc0, s2                                    // 000000004348: 925D02FF 000000C0
	s_sub_i32 s60, s50, s49                                    // 000000004350: 81BC3132
	s_sub_i32 s71, s93, s60                                    // 000000004354: 81C73C5D
	s_cmp_ge_i32 s71, 0                                        // 000000004358: BF038047
	s_cselect_b32 s59, s71, 0                                  // 00000000435C: 853B8047
	s_add_i32 s60, s71, 0xc0                                   // 000000004360: 813CFF47 000000C0
	s_cmp_le_i32 s60, 0                                        // 000000004368: BF05803C
	s_cbranch_scc0 label_015E                                  // 00000000436C: BF840002
	s_mov_b32 s92, 0                                           // 000000004370: BEDC0080
	s_branch label_016A                                        // 000000004374: BF82000C

0000000000004378 <label_015E>:
	s_mov_b32 s92, 1                                           // 000000004378: BEDC0081
	s_sub_i32 s60, s59, s71                                    // 00000000437C: 81BC473B
	v_lshrrev_b32_e32 v32, 4, v0                               // 000000004380: 20400084
	v_mul_i32_i24_e32 v32, 4, v32                              // 000000004384: 0C404084
	v_add_i32 v32, v32, s60                                    // 000000004388: D29C0020 00007920
	v_and_b32_e32 v33, 15, v0                                  // 000000004390: 2642008F
	v_mul_i32_i24_e64 v34, s46, 16                             // 000000004394: D1060022 0001202E
	v_add_u32_e32 v33, v33, v34                                // 00000000439C: 68424521
	v_sub_i32 v232, v33, v32                                   // 0000000043A0: D29D00E8 00024121

00000000000043a8 <label_016A>:
	s_mul_i32 s54, s6, s93                                     // 0000000043A8: 92365D06
	s_sub_i32 s61, s50, s93                                    // 0000000043AC: 81BD5D32
	s_mul_i32 s62, s6, s61                                     // 0000000043B0: 923E3D06
	s_lshr_b32 s62, s62, 2                                     // 0000000043B4: 8F3E823E
	s_mov_b32 s14, s62                                         // 0000000043B8: BE8E003E
	s_add_u32 s12, s54, s82                                    // 0000000043BC: 800C5236
	s_addc_u32 s13, 0, s83                                     // 0000000043C0: 820D5380
	s_mul_i32 s54, s7, s93                                     // 0000000043C4: 92365D07
	s_mul_i32 s62, s7, s61                                     // 0000000043C8: 923E3D07
	s_lshr_b32 s62, s62, 2                                     // 0000000043CC: 8F3E823E
	s_mov_b32 s18, s62                                         // 0000000043D0: BE92003E
	s_add_u32 s16, s54, s84                                    // 0000000043D4: 80105436
	s_addc_u32 s17, 0, s85                                     // 0000000043D8: 82115580
	s_mov_b32 s71, s6                                          // 0000000043DC: BEC70006
	v_lshrrev_b32_e32 v32, 4, v0                               // 0000000043E0: 20400084
	v_and_b32_e32 v33, 1, v32                                  // 0000000043E4: 26424081
	v_lshlrev_b32_e32 v33, 1, v33                              // 0000000043E8: 24424281
	v_mul_i32_i24_e32 v33, s71, v33                            // 0000000043EC: 0C424247
	v_and_b32_e32 v34, 2, v32                                  // 0000000043F0: 26444082
	v_lshlrev_b32_e32 v34, 5, v34                              // 0000000043F4: 24444485
	v_add_u32_e32 v33, v34, v33                                // 0000000043F8: 68424322
	v_and_b32_e32 v32, 15, v0                                  // 0000000043FC: 2640008F
	v_lshlrev_b32_e32 v32, 2, v32                              // 000000004400: 24404082
	v_add_u32_e32 v1, v32, v33                                 // 000000004404: 68024320
	s_mul_i32 s60, s46, s71                                    // 000000004408: 923C472E
	s_mul_i32 s60, s60, 4                                      // 00000000440C: 923C843C
	v_add_u32_e32 v1, s60, v1                                  // 000000004410: 6802023C
	v_add_u32_e32 v2, s71, v1                                  // 000000004414: 68040247
	s_mul_i32 s60, 16, s71                                     // 000000004418: 923C4790
	v_add_u32_e32 v3, s60, v1                                  // 00000000441C: 6806023C
	v_add_u32_e32 v4, s60, v2                                  // 000000004420: 6808043C
	s_mov_b32 s71, s7                                          // 000000004424: BEC70007
	v_lshrrev_b32_e32 v32, 4, v0                               // 000000004428: 20400084
	v_and_b32_e32 v33, 1, v32                                  // 00000000442C: 26424081
	v_lshlrev_b32_e32 v33, 1, v33                              // 000000004430: 24424281
	v_mul_i32_i24_e32 v33, s71, v33                            // 000000004434: 0C424247
	v_and_b32_e32 v34, 2, v32                                  // 000000004438: 26444082
	v_lshlrev_b32_e32 v34, 5, v34                              // 00000000443C: 24444485
	v_add_u32_e32 v33, v34, v33                                // 000000004440: 68424322
	v_and_b32_e32 v32, 15, v0                                  // 000000004444: 2640008F
	v_lshlrev_b32_e32 v32, 2, v32                              // 000000004448: 24404082
	v_add_u32_e32 v228, v32, v33                               // 00000000444C: 69C84320
	s_mul_i32 s60, s46, s71                                    // 000000004450: 923C472E
	s_mul_i32 s60, s60, 4                                      // 000000004454: 923C843C
	v_add_u32_e32 v228, s60, v228                              // 000000004458: 69C9C83C
	v_add_u32_e32 v229, s71, v228                              // 00000000445C: 69CBC847
	s_mul_i32 s60, 16, s71                                     // 000000004460: 923C4790
	v_add_u32_e32 v230, s60, v228                              // 000000004464: 69CDC83C
	v_add_u32_e32 v231, s60, v229                              // 000000004468: 69CFCA3C
	v_lshrrev_b32_e32 v1, 2, v1                                // 00000000446C: 20020282
	v_lshrrev_b32_e32 v2, 2, v2                                // 000000004470: 20040482
	v_lshrrev_b32_e32 v228, 2, v228                            // 000000004474: 21C9C882
	v_lshrrev_b32_e32 v229, 2, v229                            // 000000004478: 21CBCA82
	s_mov_b32 s70, s52                                         // 00000000447C: BEC60034
	v_lshrrev_b32_e32 v32, 3, v0                               // 000000004480: 20400083
	v_mul_i32_i24_e32 v5, s70, v32                             // 000000004484: 0C0A4046
	v_lshrrev_b32_e32 v5, 2, v5                                // 000000004488: 200A0A82
	v_and_b32_e32 v32, 7, v0                                   // 00000000448C: 26400087
	v_lshlrev_b32_e32 v33, 2, v32                              // 000000004490: 24424082
	v_add_u32_e32 v5, v33, v5                                  // 000000004494: 680A0B21
	s_mul_i32 s60, 16, s70                                     // 000000004498: 923C4690
	s_mul_i32 s60, s46, s60                                    // 00000000449C: 923C3C2E
	v_lshlrev_b32_e32 v5, 2, v5                                // 0000000044A0: 240A0A82
	v_add_u32_e32 v5, s60, v5                                  // 0000000044A4: 680A0A3C
	s_mul_i32 s60, s52, s93                                    // 0000000044A8: 923C5D34
	v_add_u32_e32 v5, s60, v5                                  // 0000000044AC: 680A0A3C
	v_lshrrev_b32_e32 v5, 2, v5                                // 0000000044B0: 200A0A82
	s_mov_b32 s70, s53                                         // 0000000044B4: BEC60035
	v_lshrrev_b32_e32 v32, 3, v0                               // 0000000044B8: 20400083
	v_mul_i32_i24_e32 v10, s70, v32                            // 0000000044BC: 0C144046
	v_lshrrev_b32_e32 v10, 2, v10                              // 0000000044C0: 20141482
	v_and_b32_e32 v32, 7, v0                                   // 0000000044C4: 26400087
	v_lshlrev_b32_e32 v33, 2, v32                              // 0000000044C8: 24424082
	v_add_u32_e32 v10, v33, v10                                // 0000000044CC: 68141521
	s_mul_i32 s60, 16, s70                                     // 0000000044D0: 923C4690
	s_mul_i32 s60, s46, s60                                    // 0000000044D4: 923C3C2E
	v_lshlrev_b32_e32 v10, 2, v10                              // 0000000044D8: 24141482
	v_add_u32_e32 v10, s60, v10                                // 0000000044DC: 6814143C
	s_mul_i32 s60, s53, s93                                    // 0000000044E0: 923C5D35
	v_add_u32_e32 v10, s60, v10                                // 0000000044E4: 6814143C
	v_lshrrev_b32_e32 v10, 2, v10                              // 0000000044E8: 20141482
	s_cmp_ge_i32 s59, s49                                      // 0000000044EC: BF03313B
	s_cselect_b32 s59, s49, s59                                // 0000000044F0: 853B3B31
	s_add_u32 s73, 32, s59                                     // 0000000044F4: 80493BA0
	s_mul_i32 s55, s5, s59                                     // 0000000044F8: 92373B05
	s_sub_i32 s61, s49, s59                                    // 0000000044FC: 81BD3B31
	s_mul_i32 s62, s5, s61                                     // 000000004500: 923E3D05
	s_lshr_b32 s62, s62, 2                                     // 000000004504: 8F3E823E
	s_mov_b32 s10, s62                                         // 000000004508: BE8A003E
	s_add_u32 s8, s55, s80                                     // 00000000450C: 80085037
	s_addc_u32 s9, 0, s81                                      // 000000004510: 82095180
	s_mul_i32 s56, s51, s59                                    // 000000004514: 92383B33
	s_mul_i32 s62, s51, s61                                    // 000000004518: 923E3D33
	s_lshr_b32 s62, s62, 2                                     // 00000000451C: 8F3E823E
	s_mov_b32 s22, s62                                         // 000000004520: BE96003E
	s_add_u32 s20, s56, s86                                    // 000000004524: 80145638
	s_addc_u32 s21, 0, s87                                     // 000000004528: 82155780
	s_mul_i32 s65, s59, 4                                      // 00000000452C: 9241843B
	v_and_b32_e32 v11, 31, v0                                  // 000000004530: 2616009F
	v_lshlrev_b32_e32 v11, 2, v11                              // 000000004534: 24161682
	v_add_u32_e32 v11, s65, v11                                // 000000004538: 68161641
	v_lshrrev_b32_e32 v11, 2, v11                              // 00000000453C: 20161682
	v_lshrrev_b32_e32 v32, 5, v0                               // 000000004540: 20400085
	v_mul_i32_i24_e32 v6, 0x80, v32                            // 000000004544: 0C0C40FF 00000080
	v_and_b32_e32 v32, 31, v0                                  // 00000000454C: 2640009F
	v_add_u32_e32 v6, v32, v6                                  // 000000004550: 680C0D20
	s_mul_i32 s60, s46, 0x100                                  // 000000004554: 923CFF2E 00000100
	v_add_u32_e32 v6, s60, v6                                  // 00000000455C: 680C0C3C
	v_lshlrev_b32_e32 v6, 2, v6                                // 000000004560: 240C0C82
	v_add_u32_e32 v7, 0x100, v6                                // 000000004564: 680E0CFF 00000100
	v_add_u32_e32 v8, 0x1000, v6                               // 00000000456C: 68100CFF 00001000
	v_add_u32_e32 v9, 0x1000, v7                               // 000000004574: 68120EFF 00001000
	s_mul_i32 s60, 64, s65                                     // 00000000457C: 923C41C0
	v_add_u32_e32 v6, s60, v6                                  // 000000004580: 680C0C3C
	v_lshrrev_b32_e32 v6, 2, v6                                // 000000004584: 200C0C82
	v_add_u32_e32 v7, s60, v7                                  // 000000004588: 680E0E3C
	v_lshrrev_b32_e32 v7, 2, v7                                // 00000000458C: 200E0E82
	v_add_u32_e32 v8, s60, v8                                  // 000000004590: 6810103C
	v_lshrrev_b32_e32 v8, 2, v8                                // 000000004594: 20101082
	v_add_u32_e32 v9, s60, v9                                  // 000000004598: 6812123C
	v_lshrrev_b32_e32 v9, 2, v9                                // 00000000459C: 20121282
	s_mul_i32 s60, 3, s2                                       // 0000000045A0: 923C0283
	s_add_u32 s61, s50, 63                                     // 0000000045A4: 803DBF32
	s_lshr_b32 s61, s61, 6                                     // 0000000045A8: 8F3D863D
	s_sub_i32 s72, s61, s60                                    // 0000000045AC: 81C83C3D
	s_cmp_lt_i32 s72, 3                                        // 0000000045B0: BF048348
	s_cselect_b32 s72, s72, 3                                  // 0000000045B4: 85488348
	s_mul_i32 s60, 0xc0, s2                                    // 0000000045B8: 923C02FF 000000C0
	s_sub_i32 s101, s50, s60                                   // 0000000045C0: 81E53C32
	v_and_b32_e32 v32, 31, v0                                  // 0000000045C4: 2640009F
	v_lshrrev_b32_e32 v32, 1, v32                              // 0000000045C8: 20404081
	v_and_b32_e32 v33, 1, v32                                  // 0000000045CC: 26424081
	v_lshlrev_b32_e32 v33, 4, v33                              // 0000000045D0: 24424284
	v_and_b32_e32 v34, 2, v32                                  // 0000000045D4: 26444082
	v_lshlrev_b32_e32 v34, 2, v34                              // 0000000045D8: 24444482
	v_add_u32_e32 v33, v34, v33                                // 0000000045DC: 68424322
	v_and_b32_e32 v34, 12, v32                                 // 0000000045E0: 2644408C
	v_lshrrev_b32_e32 v34, 1, v34                              // 0000000045E4: 20444481
	v_add_u32_e32 v33, v34, v33                                // 0000000045E8: 68424322
	v_lshrrev_b32_e32 v32, 5, v0                               // 0000000045EC: 20400085
	v_mul_i32_i24_e32 v34, 0x80, v32                           // 0000000045F0: 0C4440FF 00000080
	v_add_u32_e32 v33, v34, v33                                // 0000000045F8: 68424322
	v_and_b32_e32 v34, 1, v0                                   // 0000000045FC: 26440081
	v_add_u32_e32 v13, v34, v33                                // 000000004600: 681A4322
	s_mul_i32 s60, s46, 32                                     // 000000004604: 923CA02E
	v_add_u32_e32 v13, s60, v13                                // 000000004608: 681A1A3C
	v_lshlrev_b32_e32 v13, 2, v13                              // 00000000460C: 241A1A82
	v_lshrrev_b32_e32 v32, 4, v0                               // 000000004610: 20400084
	v_and_b32_e32 v33, 1, v32                                  // 000000004614: 26424081
	v_lshlrev_b32_e32 v33, 4, v33                              // 000000004618: 24424284
	v_and_b32_e32 v34, 2, v32                                  // 00000000461C: 26444082
	v_mul_i32_i24_e32 v34, 4, v34                              // 000000004620: 0C444484
	v_add_u32_e32 v33, v34, v33                                // 000000004624: 68424322
	v_and_b32_e32 v32, 15, v0                                  // 000000004628: 2640008F
	v_lshrrev_b32_e32 v34, 2, v32                              // 00000000462C: 20444082
	v_lshlrev_b32_e32 v34, 5, v34                              // 000000004630: 24444485
	v_add_u32_e32 v33, v34, v33                                // 000000004634: 68424322
	v_and_b32_e32 v32, 3, v0                                   // 000000004638: 26400083
	v_and_b32_e32 v34, 1, v32                                  // 00000000463C: 26444081
	v_mul_i32_i24_e32 v34, 0x108, v34                          // 000000004640: 0C4444FF 00000108
	v_add_u32_e32 v33, v34, v33                                // 000000004648: 68424322
	v_and_b32_e32 v34, 2, v32                                  // 00000000464C: 26444082
	v_lshlrev_b32_e32 v34, 1, v34                              // 000000004650: 24444481
	v_add_u32_e32 v12, v34, v33                                // 000000004654: 68184322
	v_lshlrev_b32_e32 v12, 2, v12                              // 000000004658: 24181882
	s_mul_i32 s60, s46, 0x880                                  // 00000000465C: 923CFF2E 00000880
	v_add_u32_e32 v24, s60, v12                                // 000000004664: 6830183C
	v_lshrrev_b32_e32 v32, 5, v0                               // 000000004668: 20400085
	v_mul_i32_i24_e32 v15, 0x80, v32                           // 00000000466C: 0C1E40FF 00000080
	v_and_b32_e32 v32, 31, v0                                  // 000000004674: 2640009F
	v_and_b32_e32 v33, 7, v32                                  // 000000004678: 26424087
	v_and_b32_e32 v34, 1, v33                                  // 00000000467C: 26444281
	v_lshlrev_b32_e32 v34, 2, v34                              // 000000004680: 24444482
	v_add_u32_e32 v15, v34, v15                                // 000000004684: 681E1F22
	v_and_b32_e32 v34, 2, v33                                  // 000000004688: 26444282
	v_lshlrev_b32_e32 v34, 3, v34                              // 00000000468C: 24444483
	v_add_u32_e32 v15, v34, v15                                // 000000004690: 681E1F22
	v_and_b32_e32 v34, 4, v33                                  // 000000004694: 26444284
	v_lshlrev_b32_e32 v34, 1, v34                              // 000000004698: 24444481
	v_add_u32_e32 v15, v34, v15                                // 00000000469C: 681E1F22
	v_lshrrev_b32_e32 v33, 3, v32                              // 0000000046A0: 20424083
	v_and_b32_e32 v34, 1, v33                                  // 0000000046A4: 26444281
	v_lshlrev_b32_e32 v34, 1, v34                              // 0000000046A8: 24444481
	v_add_u32_e32 v15, v34, v15                                // 0000000046AC: 681E1F22
	v_and_b32_e32 v34, 2, v33                                  // 0000000046B0: 26444282
	v_lshrrev_b32_e32 v34, 1, v34                              // 0000000046B4: 20444481
	v_add_u32_e32 v15, v34, v15                                // 0000000046B8: 681E1F22
	s_mul_i32 s60, s46, 32                                     // 0000000046BC: 923CA02E
	v_add_u32_e32 v15, s60, v15                                // 0000000046C0: 681E1E3C
	v_lshlrev_b32_e32 v15, 2, v15                              // 0000000046C4: 241E1E82
	v_and_b32_e32 v32, 15, v0                                  // 0000000046C8: 2640008F
	v_and_b32_e32 v34, 1, v32                                  // 0000000046CC: 26444081
	v_mul_i32_i24_e32 v14, 0x108, v34                          // 0000000046D0: 0C1C44FF 00000108
	v_and_b32_e32 v34, 2, v32                                  // 0000000046D8: 26444082
	v_lshlrev_b32_e32 v34, 1, v34                              // 0000000046DC: 24444481
	v_add_u32_e32 v14, v34, v14                                // 0000000046E0: 681C1D22
	v_and_b32_e32 v34, 4, v32                                  // 0000000046E4: 26444084
	v_lshlrev_b32_e32 v34, 2, v34                              // 0000000046E8: 24444482
	v_add_u32_e32 v14, v34, v14                                // 0000000046EC: 681C1D22
	v_and_b32_e32 v34, 8, v32                                  // 0000000046F0: 26444088
	v_add_u32_e32 v14, v34, v14                                // 0000000046F4: 681C1D22
	v_lshrrev_b32_e32 v32, 4, v0                               // 0000000046F8: 20400084
	v_and_b32_e32 v34, 1, v32                                  // 0000000046FC: 26444081
	v_lshlrev_b32_e32 v34, 5, v34                              // 000000004700: 24444485
	v_add_u32_e32 v14, v34, v14                                // 000000004704: 681C1D22
	v_and_b32_e32 v33, 2, v32                                  // 000000004708: 26424082
	v_mul_i32_i24_e32 v34, 32, v33                             // 00000000470C: 0C4442A0
	v_mul_i32_i24_e32 v33, 0x110, v33                          // 000000004710: 0C4242FF 00000110
	v_add_u32_e32 v25, v33, v14                                // 000000004718: 68321D21
	v_add_u32_e32 v14, v34, v14                                // 00000000471C: 681C1D22
	v_lshlrev_b32_e32 v14, 2, v14                              // 000000004720: 241C1C82
	v_lshlrev_b32_e32 v25, 2, v25                              // 000000004724: 24323282
	s_and_b32 s60, 1, s46                                      // 000000004728: 863C2E81
	s_mul_i32 s60, s60, 0x200                                  // 00000000472C: 923CFF3C 00000200
	v_add_u32_e32 v25, s60, v25                                // 000000004734: 6832323C
	v_lshrrev_b32_e32 v32, 4, v0                               // 000000004738: 20400084
	v_mul_i32_i24_e32 v23, 4, v32                              // 00000000473C: 0C2E4084
	v_and_b32_e32 v33, 3, v0                                   // 000000004740: 26420083
	v_add_u32_e32 v23, v33, v23                                // 000000004744: 682E2F21
	v_lshlrev_b32_e32 v23, 2, v23                              // 000000004748: 242E2E82
	v_lshrrev_b32_e32 v32, 4, v0                               // 00000000474C: 20400084
	v_and_b32_e32 v33, 1, v32                                  // 000000004750: 26424081
	v_mul_i32_i24_e32 v21, 0x100, v33                          // 000000004754: 0C2A42FF 00000100
	v_and_b32_e32 v33, 2, v32                                  // 00000000475C: 26424082
	v_mul_i32_i24_e32 v33, 64, v33                             // 000000004760: 0C4242C0
	v_add_u32_e32 v21, v33, v21                                // 000000004764: 682A2B21
	v_and_b32_e32 v32, 15, v0                                  // 000000004768: 2640008F
	v_mul_i32_i24_e32 v33, 2, v32                              // 00000000476C: 0C424082
	v_add_u32_e32 v21, v33, v21                                // 000000004770: 682A2B21
	s_mul_i32 s60, s46, 32                                     // 000000004774: 923CA02E
	v_add_u32_e32 v21, s60, v21                                // 000000004778: 682A2A3C
	v_lshlrev_b32_e32 v21, 2, v21                              // 00000000477C: 242A2A82
	v_lshlrev_b32_e32 v22, 1, v0                               // 000000004780: 242C0081
	s_mul_i32 s60, s46, 0x200                                  // 000000004784: 923CFF2E 00000200
	v_add_u32_e32 v22, s60, v22                                // 00000000478C: 682C2C3C
	v_lshlrev_b32_e32 v22, 2, v22                              // 000000004790: 242C2C82
	v_lshrrev_b32_e32 v32, 5, v0                               // 000000004794: 20400085
	v_mul_i32_i24_e32 v19, 64, v32                             // 000000004798: 0C2640C0
	v_and_b32_e32 v32, 31, v0                                  // 00000000479C: 2640009F
	v_and_b32_e32 v32, 3, v32                                  // 0000000047A0: 26404083
	v_and_b32_e32 v33, 1, v32                                  // 0000000047A4: 26424081
	v_mul_i32_i24_e32 v33, 4, v33                              // 0000000047A8: 0C424284
	v_add_u32_e32 v19, v33, v19                                // 0000000047AC: 68262721
	v_and_b32_e32 v33, 2, v32                                  // 0000000047B0: 26424082
	v_mul_i32_i24_e32 v33, 0x44, v33                           // 0000000047B4: 0C4242FF 00000044
	v_add_u32_e32 v19, v33, v19                                // 0000000047BC: 68262721
	v_and_b32_e32 v32, 31, v0                                  // 0000000047C0: 2640009F
	v_lshrrev_b32_e32 v32, 2, v32                              // 0000000047C4: 20404082
	v_lshrrev_b32_e32 v34, 2, v32                              // 0000000047C8: 20444082
	v_mul_i32_i24_e32 v33, 16, v34                             // 0000000047CC: 0C424490
	v_add_u32_e32 v19, v33, v19                                // 0000000047D0: 68262721
	v_and_b32_e32 v33, 2, v32                                  // 0000000047D4: 26424082
	v_lshlrev_b32_e32 v33, 4, v33                              // 0000000047D8: 24424284
	v_add_u32_e32 v19, v33, v19                                // 0000000047DC: 68262721
	v_and_b32_e32 v33, 1, v32                                  // 0000000047E0: 26424081
	v_xor_b32_e32 v33, v34, v33                                // 0000000047E4: 2A424322
	v_mul_i32_i24_e32 v33, 8, v33                              // 0000000047E8: 0C424288
	v_add_u32_e32 v19, v33, v19                                // 0000000047EC: 68262721
	s_lshr_b32 s60, s46, 1                                     // 0000000047F0: 8F3C812E
	s_mul_i32 s60, s60, 0x6c0                                  // 0000000047F4: 923CFF3C 000006C0
	v_add_u32_e32 v19, s60, v19                                // 0000000047FC: 6826263C
	v_lshlrev_b32_e32 v19, 2, v19                              // 000000004800: 24262682
	v_lshrrev_b32_e32 v32, 5, v0                               // 000000004804: 20400085
	v_mul_i32_i24_e32 v20, 32, v32                             // 000000004808: 0C2840A0
	v_and_b32_e32 v32, 31, v0                                  // 00000000480C: 2640009F
	v_and_b32_e32 v32, 3, v32                                  // 000000004810: 26404083
	v_and_b32_e32 v33, 1, v32                                  // 000000004814: 26424081
	v_mul_i32_i24_e32 v33, 4, v33                              // 000000004818: 0C424284
	v_add_u32_e32 v20, v33, v20                                // 00000000481C: 68282921
	v_and_b32_e32 v33, 2, v32                                  // 000000004820: 26424082
	v_lshrrev_b32_e32 v33, 1, v33                              // 000000004824: 20424281
	v_add_u32_e32 v20, v33, v20                                // 000000004828: 68282921
	v_and_b32_e32 v32, 31, v0                                  // 00000000482C: 2640009F
	v_lshrrev_b32_e32 v32, 2, v32                              // 000000004830: 20404082
	v_and_b32_e32 v34, 1, v32                                  // 000000004834: 26444081
	v_mul_i32_i24_e32 v33, 16, v34                             // 000000004838: 0C424490
	v_add_u32_e32 v20, v33, v20                                // 00000000483C: 68282921
	v_and_b32_e32 v33, 2, v32                                  // 000000004840: 26424082
	v_add_u32_e32 v20, v33, v20                                // 000000004844: 68282921
	v_lshrrev_b32_e32 v33, 2, v32                              // 000000004848: 20424082
	v_xor_b32_e32 v33, v34, v33                                // 00000000484C: 2A424322
	v_mul_i32_i24_e32 v33, 8, v33                              // 000000004850: 0C424288
	v_add_u32_e32 v20, v33, v20                                // 000000004854: 68282921
	s_and_b32 s60, 1, s46                                      // 000000004858: 863C2E81
	s_mul_i32 s60, s60, 64                                     // 00000000485C: 923CC03C
	s_lshr_b32 s61, s46, 1                                     // 000000004860: 8F3D812E
	s_mul_i32 s61, s61, 0x120                                  // 000000004864: 923DFF3D 00000120
	s_add_u32 s60, s60, s61                                    // 00000000486C: 803C3D3C
	v_add_u32_e32 v20, s60, v20                                // 000000004870: 6828283C
	v_lshlrev_b32_e32 v20, 2, v20                              // 000000004874: 24282882
	buffer_load_dword v180, v1, s[12:15], 0 idxen              // 000000004878: E0502000 8003B401
	buffer_load_dword v181, v2, s[12:15], 0 idxen              // 000000004880: E0502000 8003B502
	s_mul_i32 s60, 4, s6                                       // 000000004888: 923C0684
	s_cmp_lt_i32 0, s72                                        // 00000000488C: BF044880
	s_cselect_b32 s60, s60, 0                                  // 000000004890: 853C803C
	v_add_u32_e32 v1, s60, v1                                  // 000000004894: 6802023C
	v_add_u32_e32 v2, s60, v2                                  // 000000004898: 6804043C
	buffer_load_dword v182, v1, s[12:15], 0 idxen              // 00000000489C: E0502000 8003B601
	buffer_load_dword v183, v2, s[12:15], 0 idxen              // 0000000048A4: E0502000 8003B702
	s_mul_i32 s60, 4, s6                                       // 0000000048AC: 923C0684
	s_cmp_lt_i32 0, s72                                        // 0000000048B0: BF044880
	s_cselect_b32 s60, s60, 0                                  // 0000000048B4: 853C803C
	v_add_u32_e32 v1, s60, v1                                  // 0000000048B8: 6802023C
	v_add_u32_e32 v2, s60, v2                                  // 0000000048BC: 6804043C
	buffer_load_dword v184, v1, s[12:15], 0 idxen              // 0000000048C0: E0502000 8003B801
	buffer_load_dword v185, v2, s[12:15], 0 idxen              // 0000000048C8: E0502000 8003B902
	s_mul_i32 s60, 4, s6                                       // 0000000048D0: 923C0684
	s_cmp_lt_i32 0, s72                                        // 0000000048D4: BF044880
	s_cselect_b32 s60, s60, 0                                  // 0000000048D8: 853C803C
	v_add_u32_e32 v1, s60, v1                                  // 0000000048DC: 6802023C
	v_add_u32_e32 v2, s60, v2                                  // 0000000048E0: 6804043C
	buffer_load_dword v186, v1, s[12:15], 0 idxen              // 0000000048E4: E0502000 8003BA01
	buffer_load_dword v187, v2, s[12:15], 0 idxen              // 0000000048EC: E0502000 8003BB02
	s_mul_i32 s60, 4, s6                                       // 0000000048F4: 923C0684
	s_cmp_lt_i32 1, s72                                        // 0000000048F8: BF044881
	s_cselect_b32 s60, s60, 0                                  // 0000000048FC: 853C803C
	v_add_u32_e32 v1, s60, v1                                  // 000000004900: 6802023C
	v_add_u32_e32 v2, s60, v2                                  // 000000004904: 6804043C
	buffer_load_dword v188, v1, s[12:15], 0 idxen              // 000000004908: E0502000 8003BC01
	buffer_load_dword v189, v2, s[12:15], 0 idxen              // 000000004910: E0502000 8003BD02
	s_mul_i32 s60, 4, s6                                       // 000000004918: 923C0684
	s_cmp_lt_i32 1, s72                                        // 00000000491C: BF044881
	s_cselect_b32 s60, s60, 0                                  // 000000004920: 853C803C
	v_add_u32_e32 v1, s60, v1                                  // 000000004924: 6802023C
	v_add_u32_e32 v2, s60, v2                                  // 000000004928: 6804043C
	buffer_load_dword v190, v1, s[12:15], 0 idxen              // 00000000492C: E0502000 8003BE01
	buffer_load_dword v191, v2, s[12:15], 0 idxen              // 000000004934: E0502000 8003BF02
	s_mul_i32 s60, 4, s6                                       // 00000000493C: 923C0684
	s_cmp_lt_i32 1, s72                                        // 000000004940: BF044881
	s_cselect_b32 s60, s60, 0                                  // 000000004944: 853C803C
	v_add_u32_e32 v1, s60, v1                                  // 000000004948: 6802023C
	v_add_u32_e32 v2, s60, v2                                  // 00000000494C: 6804043C
	buffer_load_dword v192, v1, s[12:15], 0 idxen              // 000000004950: E0502000 8003C001
	buffer_load_dword v193, v2, s[12:15], 0 idxen              // 000000004958: E0502000 8003C102
	s_mul_i32 s60, 4, s6                                       // 000000004960: 923C0684
	s_cmp_lt_i32 1, s72                                        // 000000004964: BF044881
	s_cselect_b32 s60, s60, 0                                  // 000000004968: 853C803C
	v_add_u32_e32 v1, s60, v1                                  // 00000000496C: 6802023C
	v_add_u32_e32 v2, s60, v2                                  // 000000004970: 6804043C
	buffer_load_dword v194, v1, s[12:15], 0 idxen              // 000000004974: E0502000 8003C201
	buffer_load_dword v195, v2, s[12:15], 0 idxen              // 00000000497C: E0502000 8003C302
	s_mul_i32 s60, 4, s6                                       // 000000004984: 923C0684
	s_cmp_lt_i32 2, s72                                        // 000000004988: BF044882
	s_cselect_b32 s60, s60, 0                                  // 00000000498C: 853C803C
	v_add_u32_e32 v1, s60, v1                                  // 000000004990: 6802023C
	v_add_u32_e32 v2, s60, v2                                  // 000000004994: 6804043C
	buffer_load_dword v196, v1, s[12:15], 0 idxen              // 000000004998: E0502000 8003C401
	buffer_load_dword v197, v2, s[12:15], 0 idxen              // 0000000049A0: E0502000 8003C502
	s_mul_i32 s60, 4, s6                                       // 0000000049A8: 923C0684
	s_cmp_lt_i32 2, s72                                        // 0000000049AC: BF044882
	s_cselect_b32 s60, s60, 0                                  // 0000000049B0: 853C803C
	v_add_u32_e32 v1, s60, v1                                  // 0000000049B4: 6802023C
	v_add_u32_e32 v2, s60, v2                                  // 0000000049B8: 6804043C
	buffer_load_dword v198, v1, s[12:15], 0 idxen              // 0000000049BC: E0502000 8003C601
	buffer_load_dword v199, v2, s[12:15], 0 idxen              // 0000000049C4: E0502000 8003C702
	s_mul_i32 s60, 4, s6                                       // 0000000049CC: 923C0684
	s_cmp_lt_i32 2, s72                                        // 0000000049D0: BF044882
	s_cselect_b32 s60, s60, 0                                  // 0000000049D4: 853C803C
	v_add_u32_e32 v1, s60, v1                                  // 0000000049D8: 6802023C
	v_add_u32_e32 v2, s60, v2                                  // 0000000049DC: 6804043C
	buffer_load_dword v200, v1, s[12:15], 0 idxen              // 0000000049E0: E0502000 8003C801
	buffer_load_dword v201, v2, s[12:15], 0 idxen              // 0000000049E8: E0502000 8003C902
	s_mul_i32 s60, 4, s6                                       // 0000000049F0: 923C0684
	s_cmp_lt_i32 2, s72                                        // 0000000049F4: BF044882
	s_cselect_b32 s60, s60, 0                                  // 0000000049F8: 853C803C
	v_add_u32_e32 v1, s60, v1                                  // 0000000049FC: 6802023C
	v_add_u32_e32 v2, s60, v2                                  // 000000004A00: 6804043C
	buffer_load_dword v202, v1, s[12:15], 0 idxen              // 000000004A04: E0502000 8003CA01
	buffer_load_dword v203, v2, s[12:15], 0 idxen              // 000000004A0C: E0502000 8003CB02
	s_mul_i32 s60, 4, s6                                       // 000000004A14: 923C0684
	s_cmp_lt_i32 3, s72                                        // 000000004A18: BF044883
	s_cselect_b32 s60, s60, 0                                  // 000000004A1C: 853C803C
	v_add_u32_e32 v1, s60, v1                                  // 000000004A20: 6802023C
	v_add_u32_e32 v2, s60, v2                                  // 000000004A24: 6804043C
	s_waitcnt vmcnt(16) lgkmcnt(0)                             // 000000004A28: BF8C4070
	s_barrier                                                  // 000000004A2C: BF8A0000
	s_cmp_lt_i32 0, s72                                        // 000000004A30: BF044880
	s_cbranch_scc1 label_0316                                  // 000000004A34: BF850008
	v_mov_b32_e32 v180, 0                                      // 000000004A38: 7F680280
	v_mov_b32_e32 v181, 0                                      // 000000004A3C: 7F6A0280
	v_mov_b32_e32 v182, 0                                      // 000000004A40: 7F6C0280
	v_mov_b32_e32 v183, 0                                      // 000000004A44: 7F6E0280
	v_mov_b32_e32 v184, 0                                      // 000000004A48: 7F700280
	v_mov_b32_e32 v185, 0                                      // 000000004A4C: 7F720280
	v_mov_b32_e32 v186, 0                                      // 000000004A50: 7F740280
	v_mov_b32_e32 v187, 0                                      // 000000004A54: 7F760280

0000000000004a58 <label_0316>:
	v_perm_b32 v204, v181, v180, s63                           // 000000004A58: D1ED00CC 00FF69B5
	v_perm_b32 v205, v181, v180, s64                           // 000000004A60: D1ED00CD 010369B5
	v_perm_b32 v206, v183, v182, s63                           // 000000004A68: D1ED00CE 00FF6DB7
	v_perm_b32 v207, v183, v182, s64                           // 000000004A70: D1ED00CF 01036DB7
	v_perm_b32 v208, v185, v184, s63                           // 000000004A78: D1ED00D0 00FF71B9
	v_perm_b32 v209, v185, v184, s64                           // 000000004A80: D1ED00D1 010371B9
	v_perm_b32 v210, v187, v186, s63                           // 000000004A88: D1ED00D2 00FF75BB
	v_perm_b32 v211, v187, v186, s64                           // 000000004A90: D1ED00D3 010375BB
	ds_write_b32 v15, v204 offset:8704                         // 000000004A98: D81A2200 0000CC0F
	ds_write_b32 v15, v205 offset:9760                         // 000000004AA0: D81A2620 0000CD0F
	ds_write_b32 v15, v206 offset:10880                        // 000000004AA8: D81A2A80 0000CE0F
	ds_write_b32 v15, v207 offset:11936                        // 000000004AB0: D81A2EA0 0000CF0F
	ds_write_b32 v15, v208 offset:13056                        // 000000004AB8: D81A3300 0000D00F
	ds_write_b32 v15, v209 offset:14112                        // 000000004AC0: D81A3720 0000D10F
	ds_write_b32 v15, v210 offset:15232                        // 000000004AC8: D81A3B80 0000D20F
	ds_write_b32 v15, v211 offset:16288                        // 000000004AD0: D81A3FA0 0000D30F
	ds_write_b32 v13, v180                                     // 000000004AD8: D81A0000 0000B40D
	ds_write_b32 v13, v181 offset:1056                         // 000000004AE0: D81A0420 0000B50D
	ds_write_b32 v13, v182 offset:2176                         // 000000004AE8: D81A0880 0000B60D
	ds_write_b32 v13, v183 offset:3232                         // 000000004AF0: D81A0CA0 0000B70D
	ds_write_b32 v13, v184 offset:4352                         // 000000004AF8: D81A1100 0000B80D
	ds_write_b32 v13, v185 offset:5408                         // 000000004B00: D81A1520 0000B90D
	ds_write_b32 v13, v186 offset:6528                         // 000000004B08: D81A1980 0000BA0D
	ds_write_b32 v13, v187 offset:7584                         // 000000004B10: D81A1DA0 0000BB0D
	buffer_load_dword v180, v228, s[16:19], 0 idxen            // 000000004B18: E0502000 8004B4E4
	buffer_load_dword v181, v229, s[16:19], 0 idxen            // 000000004B20: E0502000 8004B5E5
	s_mul_i32 s60, 4, s7                                       // 000000004B28: 923C0784
	s_cmp_lt_i32 0, s72                                        // 000000004B2C: BF044880
	s_cselect_b32 s60, s60, 0                                  // 000000004B30: 853C803C
	v_add_u32_e32 v228, s60, v228                              // 000000004B34: 69C9C83C
	v_add_u32_e32 v229, s60, v229                              // 000000004B38: 69CBCA3C
	buffer_load_dword v182, v228, s[16:19], 0 idxen            // 000000004B3C: E0502000 8004B6E4
	buffer_load_dword v183, v229, s[16:19], 0 idxen            // 000000004B44: E0502000 8004B7E5
	s_mul_i32 s60, 4, s7                                       // 000000004B4C: 923C0784
	s_cmp_lt_i32 0, s72                                        // 000000004B50: BF044880
	s_cselect_b32 s60, s60, 0                                  // 000000004B54: 853C803C
	v_add_u32_e32 v228, s60, v228                              // 000000004B58: 69C9C83C
	v_add_u32_e32 v229, s60, v229                              // 000000004B5C: 69CBCA3C
	buffer_load_dword v184, v228, s[16:19], 0 idxen            // 000000004B60: E0502000 8004B8E4
	buffer_load_dword v185, v229, s[16:19], 0 idxen            // 000000004B68: E0502000 8004B9E5
	s_mul_i32 s60, 4, s7                                       // 000000004B70: 923C0784
	s_cmp_lt_i32 0, s72                                        // 000000004B74: BF044880
	s_cselect_b32 s60, s60, 0                                  // 000000004B78: 853C803C
	v_add_u32_e32 v228, s60, v228                              // 000000004B7C: 69C9C83C
	v_add_u32_e32 v229, s60, v229                              // 000000004B80: 69CBCA3C
	buffer_load_dword v186, v228, s[16:19], 0 idxen            // 000000004B84: E0502000 8004BAE4
	buffer_load_dword v187, v229, s[16:19], 0 idxen            // 000000004B8C: E0502000 8004BBE5
	s_mul_i32 s60, 4, s7                                       // 000000004B94: 923C0784
	s_cmp_lt_i32 1, s72                                        // 000000004B98: BF044881
	s_cselect_b32 s60, s60, 0                                  // 000000004B9C: 853C803C
	v_add_u32_e32 v228, s60, v228                              // 000000004BA0: 69C9C83C
	v_add_u32_e32 v229, s60, v229                              // 000000004BA4: 69CBCA3C
	s_waitcnt lgkmcnt(0)                                       // 000000004BA8: BF8CC07F
	s_barrier                                                  // 000000004BAC: BF8A0000
	ds_read_b128 a[24:27], v25 offset:8704                     // 000000004BB0: DBFE2200 18000019
	ds_read_b128 a[28:31], v25 offset:8960                     // 000000004BB8: DBFE2300 1C000019
	ds_read_b128 a[32:35], v25 offset:13056                    // 000000004BC0: DBFE3300 20000019
	ds_read_b128 a[36:39], v25 offset:13312                    // 000000004BC8: DBFE3400 24000019
	ds_read_b128 a[0:3], v24                                   // 000000004BD0: DBFE0000 00000018
	ds_read_b128 a[4:7], v24 offset:512                        // 000000004BD8: DBFE0200 04000018
	s_waitcnt vmcnt(16) lgkmcnt(0)                             // 000000004BE0: BF8C4070
	s_barrier                                                  // 000000004BE4: BF8A0000
	s_cmp_lt_i32 1, s72                                        // 000000004BE8: BF044881
	s_cbranch_scc1 label_0384                                  // 000000004BEC: BF850008
	v_mov_b32_e32 v188, 0                                      // 000000004BF0: 7F780280
	v_mov_b32_e32 v189, 0                                      // 000000004BF4: 7F7A0280
	v_mov_b32_e32 v190, 0                                      // 000000004BF8: 7F7C0280
	v_mov_b32_e32 v191, 0                                      // 000000004BFC: 7F7E0280
	v_mov_b32_e32 v192, 0                                      // 000000004C00: 7F800280
	v_mov_b32_e32 v193, 0                                      // 000000004C04: 7F820280
	v_mov_b32_e32 v194, 0                                      // 000000004C08: 7F840280
	v_mov_b32_e32 v195, 0                                      // 000000004C0C: 7F860280

0000000000004c10 <label_0384>:
	v_perm_b32 v204, v189, v188, s63                           // 000000004C10: D1ED00CC 00FF79BD
	v_perm_b32 v205, v189, v188, s64                           // 000000004C18: D1ED00CD 010379BD
	v_perm_b32 v206, v191, v190, s63                           // 000000004C20: D1ED00CE 00FF7DBF
	v_perm_b32 v207, v191, v190, s64                           // 000000004C28: D1ED00CF 01037DBF
	v_perm_b32 v208, v193, v192, s63                           // 000000004C30: D1ED00D0 00FF81C1
	v_perm_b32 v209, v193, v192, s64                           // 000000004C38: D1ED00D1 010381C1
	v_perm_b32 v210, v195, v194, s63                           // 000000004C40: D1ED00D2 00FF85C3
	v_perm_b32 v211, v195, v194, s64                           // 000000004C48: D1ED00D3 010385C3
	ds_write_b32 v15, v204 offset:8704                         // 000000004C50: D81A2200 0000CC0F
	ds_write_b32 v15, v205 offset:9760                         // 000000004C58: D81A2620 0000CD0F
	ds_write_b32 v15, v206 offset:10880                        // 000000004C60: D81A2A80 0000CE0F
	ds_write_b32 v15, v207 offset:11936                        // 000000004C68: D81A2EA0 0000CF0F
	ds_write_b32 v15, v208 offset:13056                        // 000000004C70: D81A3300 0000D00F
	ds_write_b32 v15, v209 offset:14112                        // 000000004C78: D81A3720 0000D10F
	ds_write_b32 v15, v210 offset:15232                        // 000000004C80: D81A3B80 0000D20F
	ds_write_b32 v15, v211 offset:16288                        // 000000004C88: D81A3FA0 0000D30F
	ds_write_b32 v13, v188                                     // 000000004C90: D81A0000 0000BC0D
	ds_write_b32 v13, v189 offset:1056                         // 000000004C98: D81A0420 0000BD0D
	ds_write_b32 v13, v190 offset:2176                         // 000000004CA0: D81A0880 0000BE0D
	ds_write_b32 v13, v191 offset:3232                         // 000000004CA8: D81A0CA0 0000BF0D
	ds_write_b32 v13, v192 offset:4352                         // 000000004CB0: D81A1100 0000C00D
	ds_write_b32 v13, v193 offset:5408                         // 000000004CB8: D81A1520 0000C10D
	ds_write_b32 v13, v194 offset:6528                         // 000000004CC0: D81A1980 0000C20D
	ds_write_b32 v13, v195 offset:7584                         // 000000004CC8: D81A1DA0 0000C30D
	buffer_load_dword v188, v228, s[16:19], 0 idxen            // 000000004CD0: E0502000 8004BCE4
	buffer_load_dword v189, v229, s[16:19], 0 idxen            // 000000004CD8: E0502000 8004BDE5
	s_mul_i32 s60, 4, s7                                       // 000000004CE0: 923C0784
	s_cmp_lt_i32 1, s72                                        // 000000004CE4: BF044881
	s_cselect_b32 s60, s60, 0                                  // 000000004CE8: 853C803C
	v_add_u32_e32 v228, s60, v228                              // 000000004CEC: 69C9C83C
	v_add_u32_e32 v229, s60, v229                              // 000000004CF0: 69CBCA3C
	buffer_load_dword v190, v228, s[16:19], 0 idxen            // 000000004CF4: E0502000 8004BEE4
	buffer_load_dword v191, v229, s[16:19], 0 idxen            // 000000004CFC: E0502000 8004BFE5
	s_mul_i32 s60, 4, s7                                       // 000000004D04: 923C0784
	s_cmp_lt_i32 1, s72                                        // 000000004D08: BF044881
	s_cselect_b32 s60, s60, 0                                  // 000000004D0C: 853C803C
	v_add_u32_e32 v228, s60, v228                              // 000000004D10: 69C9C83C
	v_add_u32_e32 v229, s60, v229                              // 000000004D14: 69CBCA3C
	buffer_load_dword v192, v228, s[16:19], 0 idxen            // 000000004D18: E0502000 8004C0E4
	buffer_load_dword v193, v229, s[16:19], 0 idxen            // 000000004D20: E0502000 8004C1E5
	s_mul_i32 s60, 4, s7                                       // 000000004D28: 923C0784
	s_cmp_lt_i32 1, s72                                        // 000000004D2C: BF044881
	s_cselect_b32 s60, s60, 0                                  // 000000004D30: 853C803C
	v_add_u32_e32 v228, s60, v228                              // 000000004D34: 69C9C83C
	v_add_u32_e32 v229, s60, v229                              // 000000004D38: 69CBCA3C
	buffer_load_dword v194, v228, s[16:19], 0 idxen            // 000000004D3C: E0502000 8004C2E4
	buffer_load_dword v195, v229, s[16:19], 0 idxen            // 000000004D44: E0502000 8004C3E5
	s_mul_i32 s60, 4, s7                                       // 000000004D4C: 923C0784
	s_cmp_lt_i32 2, s72                                        // 000000004D50: BF044882
	s_cselect_b32 s60, s60, 0                                  // 000000004D54: 853C803C
	v_add_u32_e32 v228, s60, v228                              // 000000004D58: 69C9C83C
	v_add_u32_e32 v229, s60, v229                              // 000000004D5C: 69CBCA3C
	s_waitcnt lgkmcnt(0)                                       // 000000004D60: BF8CC07F
	s_barrier                                                  // 000000004D64: BF8A0000
	ds_read_b128 a[40:43], v25 offset:8704                     // 000000004D68: DBFE2200 28000019
	ds_read_b128 a[44:47], v25 offset:8960                     // 000000004D70: DBFE2300 2C000019
	ds_read_b128 a[48:51], v25 offset:13056                    // 000000004D78: DBFE3300 30000019
	ds_read_b128 a[52:55], v25 offset:13312                    // 000000004D80: DBFE3400 34000019
	ds_read_b128 a[8:11], v24                                  // 000000004D88: DBFE0000 08000018
	ds_read_b128 a[12:15], v24 offset:512                      // 000000004D90: DBFE0200 0C000018
	s_waitcnt vmcnt(16) lgkmcnt(0)                             // 000000004D98: BF8C4070
	s_barrier                                                  // 000000004D9C: BF8A0000
	s_cmp_lt_i32 2, s72                                        // 000000004DA0: BF044882
	s_cbranch_scc1 label_03F2                                  // 000000004DA4: BF850008
	v_mov_b32_e32 v196, 0                                      // 000000004DA8: 7F880280
	v_mov_b32_e32 v197, 0                                      // 000000004DAC: 7F8A0280
	v_mov_b32_e32 v198, 0                                      // 000000004DB0: 7F8C0280
	v_mov_b32_e32 v199, 0                                      // 000000004DB4: 7F8E0280
	v_mov_b32_e32 v200, 0                                      // 000000004DB8: 7F900280
	v_mov_b32_e32 v201, 0                                      // 000000004DBC: 7F920280
	v_mov_b32_e32 v202, 0                                      // 000000004DC0: 7F940280
	v_mov_b32_e32 v203, 0                                      // 000000004DC4: 7F960280

0000000000004dc8 <label_03F2>:
	v_perm_b32 v204, v197, v196, s63                           // 000000004DC8: D1ED00CC 00FF89C5
	v_perm_b32 v205, v197, v196, s64                           // 000000004DD0: D1ED00CD 010389C5
	v_perm_b32 v206, v199, v198, s63                           // 000000004DD8: D1ED00CE 00FF8DC7
	v_perm_b32 v207, v199, v198, s64                           // 000000004DE0: D1ED00CF 01038DC7
	v_perm_b32 v208, v201, v200, s63                           // 000000004DE8: D1ED00D0 00FF91C9
	v_perm_b32 v209, v201, v200, s64                           // 000000004DF0: D1ED00D1 010391C9
	v_perm_b32 v210, v203, v202, s63                           // 000000004DF8: D1ED00D2 00FF95CB
	v_perm_b32 v211, v203, v202, s64                           // 000000004E00: D1ED00D3 010395CB
	ds_write_b32 v15, v204 offset:8704                         // 000000004E08: D81A2200 0000CC0F
	ds_write_b32 v15, v205 offset:9760                         // 000000004E10: D81A2620 0000CD0F
	ds_write_b32 v15, v206 offset:10880                        // 000000004E18: D81A2A80 0000CE0F
	ds_write_b32 v15, v207 offset:11936                        // 000000004E20: D81A2EA0 0000CF0F
	ds_write_b32 v15, v208 offset:13056                        // 000000004E28: D81A3300 0000D00F
	ds_write_b32 v15, v209 offset:14112                        // 000000004E30: D81A3720 0000D10F
	ds_write_b32 v15, v210 offset:15232                        // 000000004E38: D81A3B80 0000D20F
	ds_write_b32 v15, v211 offset:16288                        // 000000004E40: D81A3FA0 0000D30F
	ds_write_b32 v13, v196                                     // 000000004E48: D81A0000 0000C40D
	ds_write_b32 v13, v197 offset:1056                         // 000000004E50: D81A0420 0000C50D
	ds_write_b32 v13, v198 offset:2176                         // 000000004E58: D81A0880 0000C60D
	ds_write_b32 v13, v199 offset:3232                         // 000000004E60: D81A0CA0 0000C70D
	ds_write_b32 v13, v200 offset:4352                         // 000000004E68: D81A1100 0000C80D
	ds_write_b32 v13, v201 offset:5408                         // 000000004E70: D81A1520 0000C90D
	ds_write_b32 v13, v202 offset:6528                         // 000000004E78: D81A1980 0000CA0D
	ds_write_b32 v13, v203 offset:7584                         // 000000004E80: D81A1DA0 0000CB0D
	buffer_load_dword v196, v228, s[16:19], 0 idxen            // 000000004E88: E0502000 8004C4E4
	buffer_load_dword v197, v229, s[16:19], 0 idxen            // 000000004E90: E0502000 8004C5E5
	s_mul_i32 s60, 4, s7                                       // 000000004E98: 923C0784
	s_cmp_lt_i32 2, s72                                        // 000000004E9C: BF044882
	s_cselect_b32 s60, s60, 0                                  // 000000004EA0: 853C803C
	v_add_u32_e32 v228, s60, v228                              // 000000004EA4: 69C9C83C
	v_add_u32_e32 v229, s60, v229                              // 000000004EA8: 69CBCA3C
	buffer_load_dword v198, v228, s[16:19], 0 idxen            // 000000004EAC: E0502000 8004C6E4
	buffer_load_dword v199, v229, s[16:19], 0 idxen            // 000000004EB4: E0502000 8004C7E5
	s_mul_i32 s60, 4, s7                                       // 000000004EBC: 923C0784
	s_cmp_lt_i32 2, s72                                        // 000000004EC0: BF044882
	s_cselect_b32 s60, s60, 0                                  // 000000004EC4: 853C803C
	v_add_u32_e32 v228, s60, v228                              // 000000004EC8: 69C9C83C
	v_add_u32_e32 v229, s60, v229                              // 000000004ECC: 69CBCA3C
	buffer_load_dword v200, v228, s[16:19], 0 idxen            // 000000004ED0: E0502000 8004C8E4
	buffer_load_dword v201, v229, s[16:19], 0 idxen            // 000000004ED8: E0502000 8004C9E5
	s_mul_i32 s60, 4, s7                                       // 000000004EE0: 923C0784
	s_cmp_lt_i32 2, s72                                        // 000000004EE4: BF044882
	s_cselect_b32 s60, s60, 0                                  // 000000004EE8: 853C803C
	v_add_u32_e32 v228, s60, v228                              // 000000004EEC: 69C9C83C
	v_add_u32_e32 v229, s60, v229                              // 000000004EF0: 69CBCA3C
	buffer_load_dword v202, v228, s[16:19], 0 idxen            // 000000004EF4: E0502000 8004CAE4
	buffer_load_dword v203, v229, s[16:19], 0 idxen            // 000000004EFC: E0502000 8004CBE5
	s_mul_i32 s60, 4, s7                                       // 000000004F04: 923C0784
	s_cmp_lt_i32 3, s72                                        // 000000004F08: BF044883
	s_cselect_b32 s60, s60, 0                                  // 000000004F0C: 853C803C
	v_add_u32_e32 v228, s60, v228                              // 000000004F10: 69C9C83C
	v_add_u32_e32 v229, s60, v229                              // 000000004F14: 69CBCA3C
	s_waitcnt lgkmcnt(0)                                       // 000000004F18: BF8CC07F
	s_barrier                                                  // 000000004F1C: BF8A0000
	ds_read_b128 a[56:59], v25 offset:8704                     // 000000004F20: DBFE2200 38000019
	ds_read_b128 a[60:63], v25 offset:8960                     // 000000004F28: DBFE2300 3C000019
	ds_read_b128 a[64:67], v25 offset:13056                    // 000000004F30: DBFE3300 40000019
	ds_read_b128 a[68:71], v25 offset:13312                    // 000000004F38: DBFE3400 44000019
	ds_read_b128 a[16:19], v24                                 // 000000004F40: DBFE0000 10000018
	ds_read_b128 a[20:23], v24 offset:512                      // 000000004F48: DBFE0200 14000018
	s_waitcnt vmcnt(16) lgkmcnt(0)                             // 000000004F50: BF8C4070
	s_barrier                                                  // 000000004F54: BF8A0000
	s_cmp_lt_i32 0, s72                                        // 000000004F58: BF044880
	s_cbranch_scc1 label_0460                                  // 000000004F5C: BF850008
	v_mov_b32_e32 v180, 0                                      // 000000004F60: 7F680280
	v_mov_b32_e32 v181, 0                                      // 000000004F64: 7F6A0280
	v_mov_b32_e32 v182, 0                                      // 000000004F68: 7F6C0280
	v_mov_b32_e32 v183, 0                                      // 000000004F6C: 7F6E0280
	v_mov_b32_e32 v184, 0                                      // 000000004F70: 7F700280
	v_mov_b32_e32 v185, 0                                      // 000000004F74: 7F720280
	v_mov_b32_e32 v186, 0                                      // 000000004F78: 7F740280
	v_mov_b32_e32 v187, 0                                      // 000000004F7C: 7F760280

0000000000004f80 <label_0460>:
	ds_write_b32 v13, v180                                     // 000000004F80: D81A0000 0000B40D
	ds_write_b32 v13, v181 offset:1056                         // 000000004F88: D81A0420 0000B50D
	ds_write_b32 v13, v182 offset:2176                         // 000000004F90: D81A0880 0000B60D
	ds_write_b32 v13, v183 offset:3232                         // 000000004F98: D81A0CA0 0000B70D
	ds_write_b32 v13, v184 offset:4352                         // 000000004FA0: D81A1100 0000B80D
	ds_write_b32 v13, v185 offset:5408                         // 000000004FA8: D81A1520 0000B90D
	ds_write_b32 v13, v186 offset:6528                         // 000000004FB0: D81A1980 0000BA0D
	ds_write_b32 v13, v187 offset:7584                         // 000000004FB8: D81A1DA0 0000BB0D
	s_mov_b32 s71, s5                                          // 000000004FC0: BEC70005
	v_lshrrev_b32_e32 v32, 4, v0                               // 000000004FC4: 20400084
	v_and_b32_e32 v33, 1, v32                                  // 000000004FC8: 26424081
	v_lshlrev_b32_e32 v33, 1, v33                              // 000000004FCC: 24424281
	v_mul_i32_i24_e32 v33, s71, v33                            // 000000004FD0: 0C424247
	v_and_b32_e32 v34, 2, v32                                  // 000000004FD4: 26444082
	v_lshlrev_b32_e32 v34, 5, v34                              // 000000004FD8: 24444485
	v_add_u32_e32 v33, v34, v33                                // 000000004FDC: 68424322
	v_and_b32_e32 v32, 15, v0                                  // 000000004FE0: 2640008F
	v_lshlrev_b32_e32 v32, 2, v32                              // 000000004FE4: 24404082
	v_add_u32_e32 v1, v32, v33                                 // 000000004FE8: 68024320
	s_mul_i32 s60, s46, s71                                    // 000000004FEC: 923C472E
	s_mul_i32 s60, s60, 4                                      // 000000004FF0: 923C843C
	v_add_u32_e32 v1, s60, v1                                  // 000000004FF4: 6802023C
	v_add_u32_e32 v2, s71, v1                                  // 000000004FF8: 68040247
	s_mul_i32 s60, 16, s71                                     // 000000004FFC: 923C4790
	v_add_u32_e32 v3, s60, v1                                  // 000000005000: 6806023C
	v_add_u32_e32 v4, s60, v2                                  // 000000005004: 6808043C
	s_mov_b32 s71, s51                                         // 000000005008: BEC70033
	v_lshrrev_b32_e32 v32, 4, v0                               // 00000000500C: 20400084
	v_and_b32_e32 v33, 1, v32                                  // 000000005010: 26424081
	v_lshlrev_b32_e32 v33, 1, v33                              // 000000005014: 24424281
	v_mul_i32_i24_e32 v33, s71, v33                            // 000000005018: 0C424247
	v_and_b32_e32 v34, 2, v32                                  // 00000000501C: 26444082
	v_lshlrev_b32_e32 v34, 5, v34                              // 000000005020: 24444485
	v_add_u32_e32 v33, v34, v33                                // 000000005024: 68424322
	v_and_b32_e32 v32, 15, v0                                  // 000000005028: 2640008F
	v_lshlrev_b32_e32 v32, 2, v32                              // 00000000502C: 24404082
	v_add_u32_e32 v228, v32, v33                               // 000000005030: 69C84320
	s_mul_i32 s60, s46, s71                                    // 000000005034: 923C472E
	s_mul_i32 s60, s60, 4                                      // 000000005038: 923C843C
	v_add_u32_e32 v228, s60, v228                              // 00000000503C: 69C9C83C
	v_add_u32_e32 v229, s71, v228                              // 000000005040: 69CBC847
	s_mul_i32 s60, 16, s71                                     // 000000005044: 923C4790
	v_add_u32_e32 v230, s60, v228                              // 000000005048: 69CDC83C
	v_add_u32_e32 v231, s60, v229                              // 00000000504C: 69CFCA3C
	v_lshrrev_b32_e32 v1, 2, v1                                // 000000005050: 20020282
	v_lshrrev_b32_e32 v2, 2, v2                                // 000000005054: 20040482
	;; [unrolled: 1-line block ×3, first 2 shown]
	v_lshrrev_b32_e32 v4, 2, v4                                // 00000000505C: 20080882
	v_lshrrev_b32_e32 v228, 2, v228                            // 000000005060: 21C9C882
	v_lshrrev_b32_e32 v229, 2, v229                            // 000000005064: 21CBCA82
	v_lshrrev_b32_e32 v230, 2, v230                            // 000000005068: 21CDCC82
	v_lshrrev_b32_e32 v231, 2, v231                            // 00000000506C: 21CFCE82
	buffer_load_dword v36, v1, s[8:11], 0 idxen                // 000000005070: E0502000 80022401
	buffer_load_dword v37, v2, s[8:11], 0 idxen                // 000000005078: E0502000 80022502
	;; [unrolled: 1-line block ×4, first 2 shown]
	buffer_load_dword v44, v228, s[20:23], 0 idxen             // 000000005090: E0502000 80052CE4
	buffer_load_dword v45, v229, s[20:23], 0 idxen             // 000000005098: E0502000 80052DE5
	buffer_load_dword v46, v230, s[20:23], 0 idxen             // 0000000050A0: E0502000 80052EE6
	buffer_load_dword v47, v231, s[20:23], 0 idxen             // 0000000050A8: E0502000 80052FE7
	s_waitcnt lgkmcnt(0)                                       // 0000000050B0: BF8CC07F
	s_barrier                                                  // 0000000050B4: BF8A0000
	ds_read_b128 a[72:75], v24                                 // 0000000050B8: DBFE0000 48000018
	ds_read_b128 a[76:79], v24 offset:512                      // 0000000050C0: DBFE0200 4C000018
	v_add_u32_e32 v1, s68, v1                                  // 0000000050C8: 68020244
	v_add_u32_e32 v2, s68, v2                                  // 0000000050CC: 68040444
	v_add_u32_e32 v3, s68, v3                                  // 0000000050D0: 68060644
	v_add_u32_e32 v4, s68, v4                                  // 0000000050D4: 68080844
	v_add_u32_e32 v228, s99, v228                              // 0000000050D8: 69C9C863
	v_add_u32_e32 v229, s99, v229                              // 0000000050DC: 69CBCA63
	v_add_u32_e32 v230, s99, v230                              // 0000000050E0: 69CDCC63
	v_add_u32_e32 v231, s99, v231                              // 0000000050E4: 69CFCE63
	s_waitcnt vmcnt(16) lgkmcnt(0)                             // 0000000050E8: BF8C4070
	s_barrier                                                  // 0000000050EC: BF8A0000
	s_cmp_lt_i32 1, s72                                        // 0000000050F0: BF044881
	s_cbranch_scc1 label_04C6                                  // 0000000050F4: BF850008
	v_mov_b32_e32 v188, 0                                      // 0000000050F8: 7F780280
	v_mov_b32_e32 v189, 0                                      // 0000000050FC: 7F7A0280
	v_mov_b32_e32 v190, 0                                      // 000000005100: 7F7C0280
	v_mov_b32_e32 v191, 0                                      // 000000005104: 7F7E0280
	v_mov_b32_e32 v192, 0                                      // 000000005108: 7F800280
	v_mov_b32_e32 v193, 0                                      // 00000000510C: 7F820280
	v_mov_b32_e32 v194, 0                                      // 000000005110: 7F840280
	v_mov_b32_e32 v195, 0                                      // 000000005114: 7F860280

0000000000005118 <label_04C6>:
	ds_write_b32 v13, v188                                     // 000000005118: D81A0000 0000BC0D
	ds_write_b32 v13, v189 offset:1056                         // 000000005120: D81A0420 0000BD0D
	ds_write_b32 v13, v190 offset:2176                         // 000000005128: D81A0880 0000BE0D
	ds_write_b32 v13, v191 offset:3232                         // 000000005130: D81A0CA0 0000BF0D
	ds_write_b32 v13, v192 offset:4352                         // 000000005138: D81A1100 0000C00D
	ds_write_b32 v13, v193 offset:5408                         // 000000005140: D81A1520 0000C10D
	ds_write_b32 v13, v194 offset:6528                         // 000000005148: D81A1980 0000C20D
	ds_write_b32 v13, v195 offset:7584                         // 000000005150: D81A1DA0 0000C30D
	buffer_load_dword v40, v1, s[8:11], 0 idxen                // 000000005158: E0502000 80022801
	buffer_load_dword v41, v2, s[8:11], 0 idxen                // 000000005160: E0502000 80022902
	buffer_load_dword v42, v3, s[8:11], 0 idxen                // 000000005168: E0502000 80022A03
	buffer_load_dword v43, v4, s[8:11], 0 idxen                // 000000005170: E0502000 80022B04
	buffer_load_dword v48, v228, s[20:23], 0 idxen             // 000000005178: E0502000 800530E4
	buffer_load_dword v49, v229, s[20:23], 0 idxen             // 000000005180: E0502000 800531E5
	buffer_load_dword v50, v230, s[20:23], 0 idxen             // 000000005188: E0502000 800532E6
	buffer_load_dword v51, v231, s[20:23], 0 idxen             // 000000005190: E0502000 800533E7
	s_waitcnt lgkmcnt(0)                                       // 000000005198: BF8CC07F
	s_barrier                                                  // 00000000519C: BF8A0000
	ds_read_b128 a[80:83], v24                                 // 0000000051A0: DBFE0000 50000018
	ds_read_b128 a[84:87], v24 offset:512                      // 0000000051A8: DBFE0200 54000018
	s_add_u32 s60, 64, s59                                     // 0000000051B0: 803C3BC0
	s_cmp_lt_u32 s60, s58                                      // 0000000051B4: BF0A3A3C
	s_cselect_b32 s68, s68, 0                                  // 0000000051B8: 85448044
	s_cselect_b32 s99, s99, 0                                  // 0000000051BC: 85638063
	v_add_u32_e32 v1, s68, v1                                  // 0000000051C0: 68020244
	v_add_u32_e32 v2, s68, v2                                  // 0000000051C4: 68040444
	v_add_u32_e32 v3, s68, v3                                  // 0000000051C8: 68060644
	v_add_u32_e32 v4, s68, v4                                  // 0000000051CC: 68080844
	v_add_u32_e32 v228, s99, v228                              // 0000000051D0: 69C9C863
	v_add_u32_e32 v229, s99, v229                              // 0000000051D4: 69CBCA63
	v_add_u32_e32 v230, s99, v230                              // 0000000051D8: 69CDCC63
	v_add_u32_e32 v231, s99, v231                              // 0000000051DC: 69CFCE63
	s_waitcnt vmcnt(16) lgkmcnt(0)                             // 0000000051E0: BF8C4070
	s_barrier                                                  // 0000000051E4: BF8A0000
	s_cmp_lt_i32 2, s72                                        // 0000000051E8: BF044882
	s_cbranch_scc1 label_0504                                  // 0000000051EC: BF850008
	v_mov_b32_e32 v196, 0                                      // 0000000051F0: 7F880280
	v_mov_b32_e32 v197, 0                                      // 0000000051F4: 7F8A0280
	v_mov_b32_e32 v198, 0                                      // 0000000051F8: 7F8C0280
	v_mov_b32_e32 v199, 0                                      // 0000000051FC: 7F8E0280
	v_mov_b32_e32 v200, 0                                      // 000000005200: 7F900280
	v_mov_b32_e32 v201, 0                                      // 000000005204: 7F920280
	v_mov_b32_e32 v202, 0                                      // 000000005208: 7F940280
	v_mov_b32_e32 v203, 0                                      // 00000000520C: 7F960280

0000000000005210 <label_0504>:
	ds_write_b32 v13, v196                                     // 000000005210: D81A0000 0000C40D
	ds_write_b32 v13, v197 offset:1056                         // 000000005218: D81A0420 0000C50D
	ds_write_b32 v13, v198 offset:2176                         // 000000005220: D81A0880 0000C60D
	ds_write_b32 v13, v199 offset:3232                         // 000000005228: D81A0CA0 0000C70D
	ds_write_b32 v13, v200 offset:4352                         // 000000005230: D81A1100 0000C80D
	ds_write_b32 v13, v201 offset:5408                         // 000000005238: D81A1520 0000C90D
	ds_write_b32 v13, v202 offset:6528                         // 000000005240: D81A1980 0000CA0D
	ds_write_b32 v13, v203 offset:7584                         // 000000005248: D81A1DA0 0000CB0D
	s_waitcnt lgkmcnt(0)                                       // 000000005250: BF8CC07F
	s_barrier                                                  // 000000005254: BF8A0000
	ds_read_b128 a[88:91], v24                                 // 000000005258: DBFE0000 58000018
	ds_read_b128 a[92:95], v24 offset:512                      // 000000005260: DBFE0200 5C000018
	s_waitcnt vmcnt(8) lgkmcnt(0)                              // 000000005268: BF8C0078
	s_barrier                                                  // 00000000526C: BF8A0000
	buffer_load_dword v11, s[24:27], 0 idxen lds               // 000000005270: E0512000 8006000B
	s_mov_b32 m0, s79                                          // 000000005278: BEFC004F
	v_add_u32_e32 v11, s69, v11                                // 00000000527C: 68161645
	v_perm_b32 v100, v37, v36, s63                             // 000000005280: D1ED0064 00FE4925
	v_perm_b32 v101, v37, v36, s64                             // 000000005288: D1ED0065 01024925
	v_perm_b32 v102, v39, v38, s63                             // 000000005290: D1ED0066 00FE4D27
	v_perm_b32 v103, v39, v38, s64                             // 000000005298: D1ED0067 01024D27
	ds_write_b32 v15, v100 offset:4352                         // 0000000052A0: D81A1100 0000640F
	ds_write_b32 v15, v101 offset:5408                         // 0000000052A8: D81A1520 0000650F
	ds_write_b32 v15, v102 offset:6528                         // 0000000052B0: D81A1980 0000660F
	ds_write_b32 v15, v103 offset:7584                         // 0000000052B8: D81A1DA0 0000670F
	ds_write_b32 v13, v36                                      // 0000000052C0: D81A0000 0000240D
	ds_write_b32 v13, v37 offset:1056                          // 0000000052C8: D81A0420 0000250D
	ds_write_b32 v13, v38 offset:2176                          // 0000000052D0: D81A0880 0000260D
	ds_write_b32 v13, v39 offset:3232                          // 0000000052D8: D81A0CA0 0000270D
	buffer_load_dword v11, s[24:27], 0 idxen lds               // 0000000052E0: E0512000 8006000B
	s_add_u32 s60, 64, s59                                     // 0000000052E8: 803C3BC0
	s_cmp_lt_u32 s60, s58                                      // 0000000052EC: BF0A3A3C
	s_cselect_b32 s69, s69, 0                                  // 0000000052F0: 85458045
	s_mov_b32 m0, s78                                          // 0000000052F4: BEFC004E
	v_add_u32_e32 v11, s69, v11                                // 0000000052F8: 68161645
	v_perm_b32 v104, v45, v44, s63                             // 0000000052FC: D1ED0068 00FE592D
	v_perm_b32 v105, v45, v44, s64                             // 000000005304: D1ED0069 0102592D
	v_perm_b32 v106, v47, v46, s63                             // 00000000530C: D1ED006A 00FE5D2F
	v_perm_b32 v107, v47, v46, s64                             // 000000005314: D1ED006B 01025D2F
	ds_write_b32 v15, v104 offset:13056                        // 00000000531C: D81A3300 0000680F
	ds_write_b32 v15, v105 offset:14112                        // 000000005324: D81A3720 0000690F
	ds_write_b32 v15, v106 offset:15232                        // 00000000532C: D81A3B80 00006A0F
	ds_write_b32 v15, v107 offset:16288                        // 000000005334: D81A3FA0 00006B0F
	ds_write_b32 v13, v44 offset:8704                          // 00000000533C: D81A2200 00002C0D
	ds_write_b32 v13, v45 offset:9760                          // 000000005344: D81A2620 00002D0D
	ds_write_b32 v13, v46 offset:10880                         // 00000000534C: D81A2A80 00002E0D
	ds_write_b32 v13, v47 offset:11936                         // 000000005354: D81A2EA0 00002F0D
	s_waitcnt vmcnt(1) lgkmcnt(0)                              // 00000000535C: BF8C0071
	s_barrier                                                  // 000000005360: BF8A0000
	ds_read_b128 a[96:99], v12                                 // 000000005364: DBFE0000 6000000C
	ds_read_b128 a[100:103], v12 offset:512                    // 00000000536C: DBFE0200 6400000C
	ds_read_b128 a[104:107], v12 offset:2176                   // 000000005374: DBFE0880 6800000C
	ds_read_b128 a[108:111], v12 offset:2688                   // 00000000537C: DBFE0A80 6C00000C
	ds_read_b128 v[108:111], v12 offset:8704                   // 000000005384: D9FE2200 6C00000C
	ds_read_b128 v[112:115], v12 offset:9216                   // 00000000538C: D9FE2400 7000000C
	ds_read_b128 v[116:119], v12 offset:10880                  // 000000005394: D9FE2A80 7400000C
	ds_read_b128 v[120:123], v12 offset:11392                  // 00000000539C: D9FE2C80 7800000C
	ds_read_b32 v140, v23 offset:39424                         // 0000000053A4: D86C9A00 8C000017
	ds_read_b32 v144, v23 offset:39488                         // 0000000053AC: D86C9A40 90000017
	ds_read_b32 v176, v23 offset:39680                         // 0000000053B4: D86C9B00 B0000017
	ds_read_b32 v177, v23 offset:39744                         // 0000000053BC: D86C9B40 B1000017
	v_accvgpr_write_b32 a112, 0                                // 0000000053C4: D3D94070 18000080
	v_mov_b32_e32 v180, 0                                      // 0000000053CC: 7F680280
	v_accvgpr_write_b32 a113, 0                                // 0000000053D0: D3D94071 18000080
	v_mov_b32_e32 v181, 0                                      // 0000000053D8: 7F6A0280
	v_accvgpr_write_b32 a114, 0                                // 0000000053DC: D3D94072 18000080
	v_mov_b32_e32 v182, 0                                      // 0000000053E4: 7F6C0280
	v_accvgpr_write_b32 a115, 0                                // 0000000053E8: D3D94073 18000080
	v_mov_b32_e32 v183, 0                                      // 0000000053F0: 7F6E0280
	v_accvgpr_write_b32 a116, 0                                // 0000000053F4: D3D94074 18000080
	v_mov_b32_e32 v184, 0                                      // 0000000053FC: 7F700280
	v_accvgpr_write_b32 a117, 0                                // 000000005400: D3D94075 18000080
	v_mov_b32_e32 v185, 0                                      // 000000005408: 7F720280
	v_accvgpr_write_b32 a118, 0                                // 00000000540C: D3D94076 18000080
	v_mov_b32_e32 v186, 0                                      // 000000005414: 7F740280
	v_accvgpr_write_b32 a119, 0                                // 000000005418: D3D94077 18000080
	v_mov_b32_e32 v187, 0                                      // 000000005420: 7F760280
	v_accvgpr_write_b32 a120, 0                                // 000000005424: D3D94078 18000080
	v_mov_b32_e32 v188, 0                                      // 00000000542C: 7F780280
	v_accvgpr_write_b32 a121, 0                                // 000000005430: D3D94079 18000080
	v_mov_b32_e32 v189, 0                                      // 000000005438: 7F7A0280
	v_accvgpr_write_b32 a122, 0                                // 00000000543C: D3D9407A 18000080
	v_mov_b32_e32 v190, 0                                      // 000000005444: 7F7C0280
	v_accvgpr_write_b32 a123, 0                                // 000000005448: D3D9407B 18000080
	v_mov_b32_e32 v191, 0                                      // 000000005450: 7F7E0280
	v_accvgpr_write_b32 a124, 0                                // 000000005454: D3D9407C 18000080
	v_mov_b32_e32 v192, 0                                      // 00000000545C: 7F800280
	v_accvgpr_write_b32 a125, 0                                // 000000005460: D3D9407D 18000080
	v_mov_b32_e32 v193, 0                                      // 000000005468: 7F820280
	v_accvgpr_write_b32 a126, 0                                // 00000000546C: D3D9407E 18000080
	v_mov_b32_e32 v194, 0                                      // 000000005474: 7F840280
	v_accvgpr_write_b32 a127, 0                                // 000000005478: D3D9407F 18000080
	v_mov_b32_e32 v195, 0                                      // 000000005480: 7F860280
	v_accvgpr_write_b32 a128, 0                                // 000000005484: D3D94080 18000080
	v_mov_b32_e32 v196, 0                                      // 00000000548C: 7F880280
	v_accvgpr_write_b32 a129, 0                                // 000000005490: D3D94081 18000080
	v_mov_b32_e32 v197, 0                                      // 000000005498: 7F8A0280
	v_accvgpr_write_b32 a130, 0                                // 00000000549C: D3D94082 18000080
	v_mov_b32_e32 v198, 0                                      // 0000000054A4: 7F8C0280
	v_accvgpr_write_b32 a131, 0                                // 0000000054A8: D3D94083 18000080
	v_mov_b32_e32 v199, 0                                      // 0000000054B0: 7F8E0280
	v_accvgpr_write_b32 a132, 0                                // 0000000054B4: D3D94084 18000080
	v_mov_b32_e32 v200, 0                                      // 0000000054BC: 7F900280
	v_accvgpr_write_b32 a133, 0                                // 0000000054C0: D3D94085 18000080
	v_mov_b32_e32 v201, 0                                      // 0000000054C8: 7F920280
	v_accvgpr_write_b32 a134, 0                                // 0000000054CC: D3D94086 18000080
	v_mov_b32_e32 v202, 0                                      // 0000000054D4: 7F940280
	v_accvgpr_write_b32 a135, 0                                // 0000000054D8: D3D94087 18000080
	v_mov_b32_e32 v203, 0                                      // 0000000054E0: 7F960280
	v_accvgpr_write_b32 a136, 0                                // 0000000054E4: D3D94088 18000080
	v_mov_b32_e32 v204, 0                                      // 0000000054EC: 7F980280
	v_accvgpr_write_b32 a137, 0                                // 0000000054F0: D3D94089 18000080
	v_mov_b32_e32 v205, 0                                      // 0000000054F8: 7F9A0280
	v_accvgpr_write_b32 a138, 0                                // 0000000054FC: D3D9408A 18000080
	v_mov_b32_e32 v206, 0                                      // 000000005504: 7F9C0280
	v_accvgpr_write_b32 a139, 0                                // 000000005508: D3D9408B 18000080
	v_mov_b32_e32 v207, 0                                      // 000000005510: 7F9E0280
	v_accvgpr_write_b32 a140, 0                                // 000000005514: D3D9408C 18000080
	v_mov_b32_e32 v208, 0                                      // 00000000551C: 7FA00280
	v_accvgpr_write_b32 a141, 0                                // 000000005520: D3D9408D 18000080
	v_mov_b32_e32 v209, 0                                      // 000000005528: 7FA20280
	v_accvgpr_write_b32 a142, 0                                // 00000000552C: D3D9408E 18000080
	v_mov_b32_e32 v210, 0                                      // 000000005534: 7FA40280
	v_accvgpr_write_b32 a143, 0                                // 000000005538: D3D9408F 18000080
	v_mov_b32_e32 v211, 0                                      // 000000005540: 7FA60280
	v_accvgpr_write_b32 a144, 0                                // 000000005544: D3D94090 18000080
	v_mov_b32_e32 v212, 0                                      // 00000000554C: 7FA80280
	v_accvgpr_write_b32 a145, 0                                // 000000005550: D3D94091 18000080
	v_mov_b32_e32 v213, 0                                      // 000000005558: 7FAA0280
	v_accvgpr_write_b32 a146, 0                                // 00000000555C: D3D94092 18000080
	v_mov_b32_e32 v214, 0                                      // 000000005564: 7FAC0280
	v_accvgpr_write_b32 a147, 0                                // 000000005568: D3D94093 18000080
	v_mov_b32_e32 v215, 0                                      // 000000005570: 7FAE0280
	v_accvgpr_write_b32 a148, 0                                // 000000005574: D3D94094 18000080
	v_mov_b32_e32 v216, 0                                      // 00000000557C: 7FB00280
	v_accvgpr_write_b32 a149, 0                                // 000000005580: D3D94095 18000080
	v_mov_b32_e32 v217, 0                                      // 000000005588: 7FB20280
	v_accvgpr_write_b32 a150, 0                                // 00000000558C: D3D94096 18000080
	v_mov_b32_e32 v218, 0                                      // 000000005594: 7FB40280
	v_accvgpr_write_b32 a151, 0                                // 000000005598: D3D94097 18000080
	v_mov_b32_e32 v219, 0                                      // 0000000055A0: 7FB60280
	v_accvgpr_write_b32 a152, 0                                // 0000000055A4: D3D94098 18000080
	v_mov_b32_e32 v220, 0                                      // 0000000055AC: 7FB80280
	v_accvgpr_write_b32 a153, 0                                // 0000000055B0: D3D94099 18000080
	v_mov_b32_e32 v221, 0                                      // 0000000055B8: 7FBA0280
	v_accvgpr_write_b32 a154, 0                                // 0000000055BC: D3D9409A 18000080
	v_mov_b32_e32 v222, 0                                      // 0000000055C4: 7FBC0280
	v_accvgpr_write_b32 a155, 0                                // 0000000055C8: D3D9409B 18000080
	v_mov_b32_e32 v223, 0                                      // 0000000055D0: 7FBE0280
	v_accvgpr_write_b32 a156, 0                                // 0000000055D4: D3D9409C 18000080
	v_mov_b32_e32 v224, 0                                      // 0000000055DC: 7FC00280
	v_accvgpr_write_b32 a157, 0                                // 0000000055E0: D3D9409D 18000080
	v_mov_b32_e32 v225, 0                                      // 0000000055E8: 7FC20280
	v_accvgpr_write_b32 a158, 0                                // 0000000055EC: D3D9409E 18000080
	v_mov_b32_e32 v226, 0                                      // 0000000055F4: 7FC40280
	v_accvgpr_write_b32 a159, 0                                // 0000000055F8: D3D9409F 18000080
	v_mov_b32_e32 v227, 0                                      // 000000005600: 7FC60280
	v_mov_b32_e32 v156, 0                                      // 000000005604: 7F380280
	v_mov_b32_e32 v157, 0                                      // 000000005608: 7F3A0280
	v_mov_b32_e32 v158, 0                                      // 00000000560C: 7F3C0280
	v_mov_b32_e32 v159, 0                                      // 000000005610: 7F3E0280
	v_mov_b32_e32 v160, 0                                      // 000000005614: 7F400280
	v_mov_b32_e32 v161, 0                                      // 000000005618: 7F420280
	v_mov_b32_e32 v162, 0                                      // 00000000561C: 7F440280
	v_mov_b32_e32 v163, 0                                      // 000000005620: 7F460280
	v_mov_b32_e32 v148, 0                                      // 000000005624: 7F280280
	v_mov_b32_e32 v149, 0                                      // 000000005628: 7F2A0280
	v_mov_b32_e32 v150, 0                                      // 00000000562C: 7F2C0280
	v_mov_b32_e32 v151, 0                                      // 000000005630: 7F2E0280
	v_mov_b32_e32 v152, 0                                      // 000000005634: 7F300280
	v_mov_b32_e32 v153, 0                                      // 000000005638: 7F320280
	v_mov_b32_e32 v154, 0                                      // 00000000563C: 7F340280
	v_mov_b32_e32 v155, 0                                      // 000000005640: 7F360280
	s_waitcnt lgkmcnt(0)                                       // 000000005644: BF8CC07F
	s_barrier                                                  // 000000005648: BF8A0000
	buffer_load_dword v36, v1, s[8:11], 0 idxen                // 00000000564C: E0502000 80022401
	buffer_load_dword v37, v2, s[8:11], 0 idxen                // 000000005654: E0502000 80022502
	buffer_load_dword v38, v3, s[8:11], 0 idxen                // 00000000565C: E0502000 80022603
	buffer_load_dword v39, v4, s[8:11], 0 idxen                // 000000005664: E0502000 80022704
	buffer_load_dword v44, v228, s[20:23], 0 idxen             // 00000000566C: E0502000 80052CE4
	buffer_load_dword v45, v229, s[20:23], 0 idxen             // 000000005674: E0502000 80052DE5
	buffer_load_dword v46, v230, s[20:23], 0 idxen             // 00000000567C: E0502000 80052EE6
	buffer_load_dword v47, v231, s[20:23], 0 idxen             // 000000005684: E0502000 80052FE7
	buffer_load_dword v11, s[24:27], 0 idxen lds               // 00000000568C: E0512000 8006000B
	s_add_u32 s60, 0x60, s59                                   // 000000005694: 803C3BFF 00000060
	s_cmp_lt_u32 s60, s58                                      // 00000000569C: BF0A3A3C
	s_cselect_b32 s68, s68, 0                                  // 0000000056A0: 85448044
	s_cselect_b32 s99, s99, 0                                  // 0000000056A4: 85638063
	s_cselect_b32 s69, s69, 0                                  // 0000000056A8: 85458045
	s_mov_b32 m0, s79                                          // 0000000056AC: BEFC004F
	v_add_u32_e32 v11, s69, v11                                // 0000000056B0: 68161645
	v_add_u32_e32 v1, s68, v1                                  // 0000000056B4: 68020244
	v_add_u32_e32 v2, s68, v2                                  // 0000000056B8: 68040444
	v_add_u32_e32 v3, s68, v3                                  // 0000000056BC: 68060644
	v_add_u32_e32 v4, s68, v4                                  // 0000000056C0: 68080844
	v_add_u32_e32 v228, s99, v228                              // 0000000056C4: 69C9C863
	v_add_u32_e32 v229, s99, v229                              // 0000000056C8: 69CBCA63
	v_add_u32_e32 v230, s99, v230                              // 0000000056CC: 69CDCC63
	v_add_u32_e32 v231, s99, v231                              // 0000000056D0: 69CFCE63
	v_mul_f32_e32 v140, s48, v140                              // 0000000056D4: 0B191830
	v_mul_f32_e32 v144, s48, v144                              // 0000000056D8: 0B212030
	v_perm_b32 v100, v41, v40, s63                             // 0000000056DC: D1ED0064 00FE5129
	v_perm_b32 v101, v41, v40, s64                             // 0000000056E4: D1ED0065 01025129
	v_perm_b32 v102, v43, v42, s63                             // 0000000056EC: D1ED0066 00FE552B
	v_perm_b32 v103, v43, v42, s64                             // 0000000056F4: D1ED0067 0102552B
	v_perm_b32 v104, v49, v48, s63                             // 0000000056FC: D1ED0068 00FE6131
	v_perm_b32 v105, v49, v48, s64                             // 000000005704: D1ED0069 01026131
	v_perm_b32 v106, v51, v50, s63                             // 00000000570C: D1ED006A 00FE6533
	v_perm_b32 v107, v51, v50, s64                             // 000000005714: D1ED006B 01026533
	v_mov_b32_dpp v143, v140 quad_perm:[3,3,3,3] row_mask:0xf bank_mask:0xf// 00000000571C: 7F1E02FA FF00FF8C
	v_mov_b32_dpp v142, v140 quad_perm:[2,2,2,2] row_mask:0xf bank_mask:0xf// 000000005724: 7F1C02FA FF00AA8C
	v_mov_b32_dpp v141, v140 quad_perm:[1,1,1,1] row_mask:0xf bank_mask:0xf// 00000000572C: 7F1A02FA FF00558C
	v_mov_b32_dpp v140, v140 quad_perm:[0,0,0,0] row_mask:0xf bank_mask:0xf// 000000005734: 7F1802FA FF00008C
	v_mov_b32_dpp v147, v144 quad_perm:[3,3,3,3] row_mask:0xf bank_mask:0xf// 00000000573C: 7F2602FA FF00FF90
	v_mov_b32_dpp v146, v144 quad_perm:[2,2,2,2] row_mask:0xf bank_mask:0xf// 000000005744: 7F2402FA FF00AA90
	v_mov_b32_dpp v145, v144 quad_perm:[1,1,1,1] row_mask:0xf bank_mask:0xf// 00000000574C: 7F2202FA FF005590
	v_mov_b32_dpp v144, v144 quad_perm:[0,0,0,0] row_mask:0xf bank_mask:0xf// 000000005754: 7F2002FA FF000090
	s_waitcnt vmcnt(9)                                         // 00000000575C: BF8C0F79
	s_barrier                                                  // 000000005760: BF8A0000
	s_cmp_lt_i32 s46, 2                                        // 000000005764: BF04822E
	s_cbranch_scc0 label_0DFB                                  // 000000005768: BF84078E
	s_nop 0                                                    // 00000000576C: BF800000
	s_nop 0                                                    // 000000005770: BF800000

0000000000005774 <label_065D>:
	s_waitcnt lgkmcnt(0)                                       // 000000005774: BF8CC07F
	s_barrier                                                  // 000000005778: BF8A0000
	v_mfma_f32_16x16x16_f16 v[52:55], a[96:97], a[0:1], 0      // 00000000577C: D3CD0034 1A020160
	ds_write_b32 v13, v48 offset:8704                          // 000000005784: D81A2200 0000300D
	ds_write_b32 v13, v49 offset:9760                          // 00000000578C: D81A2620 0000310D
	v_mfma_f32_16x16x16_f16 v[52:55], a[98:99], a[2:3], v[52:55]// 000000005794: D3CD0034 1CD20562
	v_mul_f32_e32 v148, s47, v148                              // 00000000579C: 0B29282F
	v_mul_f32_e32 v149, s47, v149                              // 0000000057A0: 0B2B2A2F
	v_mfma_f32_16x16x16_f16 v[52:55], a[100:101], a[4:5], v[52:55]// 0000000057A4: D3CD0034 1CD20964
	ds_write_b32 v13, v50 offset:10880                         // 0000000057AC: D81A2A80 0000320D
	ds_write_b32 v13, v51 offset:11936                         // 0000000057B4: D81A2EA0 0000330D
	v_mfma_f32_16x16x16_f16 v[52:55], a[102:103], a[6:7], v[52:55]// 0000000057BC: D3CD0034 1CD20D66
	v_mul_f32_e32 v150, s47, v150                              // 0000000057C4: 0B2D2C2F
	v_mul_f32_e32 v151, s47, v151                              // 0000000057C8: 0B2F2E2F
	v_mfma_f32_16x16x16_f16 v[56:59], a[96:97], a[8:9], 0      // 0000000057CC: D3CD0038 1A021160
	ds_write_b64 v22, v[148:149] offset:31232                  // 0000000057D4: D89A7A00 00009416
	v_mfma_f32_16x16x16_f16 v[56:59], a[98:99], a[10:11], v[56:59]// 0000000057DC: D3CD0038 1CE21562
	v_mul_f32_e32 v152, s47, v152                              // 0000000057E4: 0B31302F
	v_mul_f32_e32 v153, s47, v153                              // 0000000057E8: 0B33322F
	v_mfma_f32_16x16x16_f16 v[56:59], a[100:101], a[12:13], v[56:59]// 0000000057EC: D3CD0038 1CE21964
	ds_write_b64 v22, v[150:151] offset:31744                  // 0000000057F4: D89A7C00 00009616
	v_mfma_f32_16x16x16_f16 v[56:59], a[102:103], a[14:15], v[56:59]// 0000000057FC: D3CD0038 1CE21D66
	v_mul_f32_e32 v154, s47, v154                              // 000000005804: 0B35342F
	v_mul_f32_e32 v155, s47, v155                              // 000000005808: 0B37362F
	v_mfma_f32_16x16x16_f16 v[60:63], a[96:97], a[16:17], 0    // 00000000580C: D3CD003C 1A022160
	ds_write_b64 v22, v[152:153] offset:32256                  // 000000005814: D89A7E00 00009816
	v_mfma_f32_16x16x16_f16 v[60:63], a[98:99], a[18:19], v[60:63]// 00000000581C: D3CD003C 1CF22562
	buffer_atomic_add_f32 v160, v8, s[32:35], 0 idxen          // 000000005824: E1342000 8008A008
	v_mfma_f32_16x16x16_f16 v[60:63], a[100:101], a[20:21], v[60:63]// 00000000582C: D3CD003C 1CF22964
	ds_write_b64 v22, v[154:155] offset:32768                  // 000000005834: D89A8000 00009A16
	v_mfma_f32_16x16x16_f16 v[60:63], a[102:103], a[22:23], v[60:63]// 00000000583C: D3CD003C 1CF22D66
	v_mfma_f32_16x16x16_f16 v[64:67], a[104:105], a[0:1], 0    // 000000005844: D3CD0040 1A020168
	ds_read_b128 v[124:127], v14 offset:13056                  // 00000000584C: D9FE3300 7C00000E
	ds_write_b32 v13, v40                                      // 000000005854: D81A0000 0000280D
	v_mfma_f32_16x16x16_f16 v[64:67], a[106:107], a[2:3], v[64:67]// 00000000585C: D3CD0040 1D02056A
	buffer_atomic_add_f32 v161, v9, s[32:35], 0 idxen          // 000000005864: E1342000 8008A109
	v_mfma_f32_16x16x16_f16 v[64:67], a[108:109], a[4:5], v[64:67]// 00000000586C: D3CD0040 1D02096C
	v_mfma_f32_16x16x16_f16 v[64:67], a[110:111], a[6:7], v[64:67]// 000000005874: D3CD0040 1D020D6E
	ds_read_b128 v[128:131], v14 offset:13568                  // 00000000587C: D9FE3500 8000000E
	ds_write_b32 v13, v41 offset:1056                          // 000000005884: D81A0420 0000290D
	v_mfma_f32_16x16x16_f16 v[68:71], a[104:105], a[8:9], 0    // 00000000588C: D3CD0044 1A021168
	buffer_atomic_add_f32 v162, v8, s[32:35], 0 idxen offset:128// 000000005894: E1342080 8008A208
	v_mfma_f32_16x16x16_f16 v[68:71], a[106:107], a[10:11], v[68:71]// 00000000589C: D3CD0044 1D12156A
	v_mfma_f32_16x16x16_f16 v[68:71], a[108:109], a[12:13], v[68:71]// 0000000058A4: D3CD0044 1D12196C
	ds_read_b128 v[132:135], v14 offset:15232                  // 0000000058AC: D9FE3B80 8400000E
	ds_write_b32 v13, v42 offset:2176                          // 0000000058B4: D81A0880 00002A0D
	v_mfma_f32_16x16x16_f16 v[68:71], a[110:111], a[14:15], v[68:71]// 0000000058BC: D3CD0044 1D121D6E
	v_mfma_f32_16x16x16_f16 v[72:75], a[104:105], a[16:17], 0  // 0000000058C4: D3CD0048 1A022168
	buffer_atomic_add_f32 v163, v9, s[32:35], 0 idxen offset:128// 0000000058CC: E1342080 8008A309
	v_mfma_f32_16x16x16_f16 v[72:75], a[106:107], a[18:19], v[72:75]// 0000000058D4: D3CD0048 1D22256A
	ds_read_b128 v[136:139], v14 offset:15744                  // 0000000058DC: D9FE3D80 8800000E
	ds_write_b32 v13, v43 offset:3232                          // 0000000058E4: D81A0CA0 00002B0D
	v_mfma_f32_16x16x16_f16 v[72:75], a[108:109], a[20:21], v[72:75]// 0000000058EC: D3CD0048 1D22296C
	v_mfma_f32_16x16x16_f16 v[72:75], a[110:111], a[22:23], v[72:75]// 0000000058F4: D3CD0048 1D222D6E
	s_cmp_eq_i32 s92, 0                                        // 0000000058FC: BF00805C
	s_cbranch_scc1 label_07BA                                  // 000000005900: BF8500F0
	s_cmp_lt_i32 s74, 6                                        // 000000005904: BF04864A
	s_cbranch_scc0 label_0741                                  // 000000005908: BF84007E
	s_lshl_b32 s60, s74, 5                                     // 00000000590C: 8E3C854A
	s_lshl_b32 s61, 0, 4                                       // 000000005910: 8E3D8480
	s_add_i32 s60, s60, s61                                    // 000000005914: 813C3D3C
	v_sub_i32 v32, v232, s60                                   // 000000005918: D29D0020 000079E8
	s_mov_b32 s61, 0                                           // 000000005920: BEBD0080
	v_add_i32 v33, v32, s61                                    // 000000005924: D29C0021 00007B20
	v_cmp_gt_i32_e64 s[88:89], v33, 0                          // 00000000592C: D0C40058 00010121
	v_cmp_gt_i32_e64 s[90:91], v33, 1                          // 000000005934: D0C4005A 00010321
	v_cndmask_b32_e64 v52, v52, v178, s[88:89]                 // 00000000593C: D1000034 01636534
	v_cndmask_b32_e64 v53, v53, v178, s[90:91]                 // 000000005944: D1000035 016B6535
	v_cmp_gt_i32_e64 s[88:89], v33, 2                          // 00000000594C: D0C40058 00010521
	v_cmp_gt_i32_e64 s[90:91], v33, 3                          // 000000005954: D0C4005A 00010721
	v_cndmask_b32_e64 v54, v54, v178, s[88:89]                 // 00000000595C: D1000036 01636536
	v_cndmask_b32_e64 v55, v55, v178, s[90:91]                 // 000000005964: D1000037 016B6537
	s_mov_b32 s61, 64                                          // 00000000596C: BEBD00C0
	v_add_i32 v33, v32, s61                                    // 000000005970: D29C0021 00007B20
	v_cmp_gt_i32_e64 s[88:89], v33, 0                          // 000000005978: D0C40058 00010121
	v_cmp_gt_i32_e64 s[90:91], v33, 1                          // 000000005980: D0C4005A 00010321
	v_cndmask_b32_e64 v56, v56, v178, s[88:89]                 // 000000005988: D1000038 01636538
	v_cndmask_b32_e64 v57, v57, v178, s[90:91]                 // 000000005990: D1000039 016B6539
	v_cmp_gt_i32_e64 s[88:89], v33, 2                          // 000000005998: D0C40058 00010521
	v_cmp_gt_i32_e64 s[90:91], v33, 3                          // 0000000059A0: D0C4005A 00010721
	v_cndmask_b32_e64 v58, v58, v178, s[88:89]                 // 0000000059A8: D100003A 0163653A
	v_cndmask_b32_e64 v59, v59, v178, s[90:91]                 // 0000000059B0: D100003B 016B653B
	s_mov_b32 s61, 0x80                                        // 0000000059B8: BEBD00FF 00000080
	v_add_i32 v33, v32, s61                                    // 0000000059C0: D29C0021 00007B20
	v_cmp_gt_i32_e64 s[88:89], v33, 0                          // 0000000059C8: D0C40058 00010121
	v_cmp_gt_i32_e64 s[90:91], v33, 1                          // 0000000059D0: D0C4005A 00010321
	v_cndmask_b32_e64 v60, v60, v178, s[88:89]                 // 0000000059D8: D100003C 0163653C
	v_cndmask_b32_e64 v61, v61, v178, s[90:91]                 // 0000000059E0: D100003D 016B653D
	v_cmp_gt_i32_e64 s[88:89], v33, 2                          // 0000000059E8: D0C40058 00010521
	v_cmp_gt_i32_e64 s[90:91], v33, 3                          // 0000000059F0: D0C4005A 00010721
	v_cndmask_b32_e64 v62, v62, v178, s[88:89]                 // 0000000059F8: D100003E 0163653E
	v_cndmask_b32_e64 v63, v63, v178, s[90:91]                 // 000000005A00: D100003F 016B653F
	s_lshl_b32 s60, s74, 5                                     // 000000005A08: 8E3C854A
	s_lshl_b32 s61, 1, 4                                       // 000000005A0C: 8E3D8481
	s_add_i32 s60, s60, s61                                    // 000000005A10: 813C3D3C
	v_sub_i32 v32, v232, s60                                   // 000000005A14: D29D0020 000079E8
	s_mov_b32 s61, 0                                           // 000000005A1C: BEBD0080
	v_add_i32 v33, v32, s61                                    // 000000005A20: D29C0021 00007B20
	v_cmp_gt_i32_e64 s[88:89], v33, 0                          // 000000005A28: D0C40058 00010121
	v_cmp_gt_i32_e64 s[90:91], v33, 1                          // 000000005A30: D0C4005A 00010321
	v_cndmask_b32_e64 v64, v64, v178, s[88:89]                 // 000000005A38: D1000040 01636540
	v_cndmask_b32_e64 v65, v65, v178, s[90:91]                 // 000000005A40: D1000041 016B6541
	v_cmp_gt_i32_e64 s[88:89], v33, 2                          // 000000005A48: D0C40058 00010521
	v_cmp_gt_i32_e64 s[90:91], v33, 3                          // 000000005A50: D0C4005A 00010721
	v_cndmask_b32_e64 v66, v66, v178, s[88:89]                 // 000000005A58: D1000042 01636542
	v_cndmask_b32_e64 v67, v67, v178, s[90:91]                 // 000000005A60: D1000043 016B6543
	s_mov_b32 s61, 64                                          // 000000005A68: BEBD00C0
	v_add_i32 v33, v32, s61                                    // 000000005A6C: D29C0021 00007B20
	v_cmp_gt_i32_e64 s[88:89], v33, 0                          // 000000005A74: D0C40058 00010121
	v_cmp_gt_i32_e64 s[90:91], v33, 1                          // 000000005A7C: D0C4005A 00010321
	v_cndmask_b32_e64 v68, v68, v178, s[88:89]                 // 000000005A84: D1000044 01636544
	v_cndmask_b32_e64 v69, v69, v178, s[90:91]                 // 000000005A8C: D1000045 016B6545
	v_cmp_gt_i32_e64 s[88:89], v33, 2                          // 000000005A94: D0C40058 00010521
	v_cmp_gt_i32_e64 s[90:91], v33, 3                          // 000000005A9C: D0C4005A 00010721
	v_cndmask_b32_e64 v70, v70, v178, s[88:89]                 // 000000005AA4: D1000046 01636546
	v_cndmask_b32_e64 v71, v71, v178, s[90:91]                 // 000000005AAC: D1000047 016B6547
	s_mov_b32 s61, 0x80                                        // 000000005AB4: BEBD00FF 00000080
	v_add_i32 v33, v32, s61                                    // 000000005ABC: D29C0021 00007B20
	v_cmp_gt_i32_e64 s[88:89], v33, 0                          // 000000005AC4: D0C40058 00010121
	v_cmp_gt_i32_e64 s[90:91], v33, 1                          // 000000005ACC: D0C4005A 00010321
	v_cndmask_b32_e64 v72, v72, v178, s[88:89]                 // 000000005AD4: D1000048 01636548
	v_cndmask_b32_e64 v73, v73, v178, s[90:91]                 // 000000005ADC: D1000049 016B6549
	v_cmp_gt_i32_e64 s[88:89], v33, 2                          // 000000005AE4: D0C40058 00010521
	v_cmp_gt_i32_e64 s[90:91], v33, 3                          // 000000005AEC: D0C4005A 00010721
	v_cndmask_b32_e64 v74, v74, v178, s[88:89]                 // 000000005AF4: D100004A 0163654A
	v_cndmask_b32_e64 v75, v75, v178, s[90:91]                 // 000000005AFC: D100004B 016B654B

0000000000005b04 <label_0741>:
	s_cmp_lt_i32 s101, 0xc0                                    // 000000005B04: BF04FF65 000000C0
	s_cbranch_scc0 label_07BA                                  // 000000005B0C: BF84006D
	s_cmp_le_i32 s101, 64                                      // 000000005B10: BF05C065
	s_cbranch_scc1 label_074D                                  // 000000005B14: BF850007
	s_cmp_le_i32 s101, 0x80                                    // 000000005B18: BF05FF65 00000080
	s_cbranch_scc1 label_0771                                  // 000000005B20: BF85001F
	s_cmp_lt_i32 s101, 0xc0                                    // 000000005B24: BF04FF65 000000C0
	s_cbranch_scc1 label_0795                                  // 000000005B2C: BF850040
	s_branch label_07BA                                        // 000000005B30: BF820064

0000000000005b34 <label_074D>:
	s_mov_b32 s60, 0                                           // 000000005B34: BEBC0080
	v_and_b32_e32 v32, 15, v0                                  // 000000005B38: 2640008F
	v_add_u32_e64 v32, v32, s60                                // 000000005B3C: D1340020 00007920
	v_mul_i32_i24_e64 v33, s46, 16                             // 000000005B44: D1060021 0001202E
	v_add_u32_e32 v32, v32, v33                                // 000000005B4C: 68404320
	v_cmp_lt_u32_e64 s[60:61], v32, s101                       // 000000005B50: D0C9003C 0000CB20
	s_nop 1                                                    // 000000005B58: BF800001
	v_cndmask_b32_e64 v52, v178, v52, s[60:61]                 // 000000005B5C: D1000034 00F269B2
	v_cndmask_b32_e64 v64, v178, v64, s[60:61]                 // 000000005B64: D1000040 00F281B2
	v_cndmask_b32_e64 v53, v178, v53, s[60:61]                 // 000000005B6C: D1000035 00F26BB2
	v_cndmask_b32_e64 v65, v178, v65, s[60:61]                 // 000000005B74: D1000041 00F283B2
	v_cndmask_b32_e64 v54, v178, v54, s[60:61]                 // 000000005B7C: D1000036 00F26DB2
	v_cndmask_b32_e64 v66, v178, v66, s[60:61]                 // 000000005B84: D1000042 00F285B2
	v_cndmask_b32_e64 v55, v178, v55, s[60:61]                 // 000000005B8C: D1000037 00F26FB2
	v_cndmask_b32_e64 v67, v178, v67, s[60:61]                 // 000000005B94: D1000043 00F287B2
	s_branch label_078C                                        // 000000005B9C: BF82001B

0000000000005ba0 <label_0771>:
	s_mov_b32 s60, 64                                          // 000000005BA0: BEBC00C0
	v_and_b32_e32 v32, 15, v0                                  // 000000005BA4: 2640008F
	v_add_u32_e64 v32, v32, s60                                // 000000005BA8: D1340020 00007920
	v_mul_i32_i24_e64 v33, s46, 16                             // 000000005BB0: D1060021 0001202E
	v_add_u32_e32 v32, v32, v33                                // 000000005BB8: 68404320
	v_cmp_lt_u32_e64 s[60:61], v32, s101                       // 000000005BBC: D0C9003C 0000CB20
	s_nop 1                                                    // 000000005BC4: BF800001
	v_cndmask_b32_e64 v56, v178, v56, s[60:61]                 // 000000005BC8: D1000038 00F271B2
	v_cndmask_b32_e64 v68, v178, v68, s[60:61]                 // 000000005BD0: D1000044 00F289B2
	v_cndmask_b32_e64 v57, v178, v57, s[60:61]                 // 000000005BD8: D1000039 00F273B2
	v_cndmask_b32_e64 v69, v178, v69, s[60:61]                 // 000000005BE0: D1000045 00F28BB2
	v_cndmask_b32_e64 v58, v178, v58, s[60:61]                 // 000000005BE8: D100003A 00F275B2
	v_cndmask_b32_e64 v70, v178, v70, s[60:61]                 // 000000005BF0: D1000046 00F28DB2
	v_cndmask_b32_e64 v59, v178, v59, s[60:61]                 // 000000005BF8: D100003B 00F277B2
	v_cndmask_b32_e64 v71, v178, v71, s[60:61]                 // 000000005C00: D1000047 00F28FB2
	s_branch label_07B1                                        // 000000005C08: BF820025

0000000000005c0c <label_078C>:
	v_mov_b32_e32 v56, v178                                    // 000000005C0C: 7E7003B2
	v_mov_b32_e32 v68, v178                                    // 000000005C10: 7E8803B2
	v_mov_b32_e32 v57, v178                                    // 000000005C14: 7E7203B2
	v_mov_b32_e32 v69, v178                                    // 000000005C18: 7E8A03B2
	v_mov_b32_e32 v58, v178                                    // 000000005C1C: 7E7403B2
	v_mov_b32_e32 v70, v178                                    // 000000005C20: 7E8C03B2
	v_mov_b32_e32 v59, v178                                    // 000000005C24: 7E7603B2
	v_mov_b32_e32 v71, v178                                    // 000000005C28: 7E8E03B2
	s_branch label_07B1                                        // 000000005C2C: BF82001C

0000000000005c30 <label_0795>:
	s_mov_b32 s60, 0x80                                        // 000000005C30: BEBC00FF 00000080
	v_and_b32_e32 v32, 15, v0                                  // 000000005C38: 2640008F
	v_add_u32_e64 v32, v32, s60                                // 000000005C3C: D1340020 00007920
	v_mul_i32_i24_e64 v33, s46, 16                             // 000000005C44: D1060021 0001202E
	v_add_u32_e32 v32, v32, v33                                // 000000005C4C: 68404320
	v_cmp_lt_u32_e64 s[60:61], v32, s101                       // 000000005C50: D0C9003C 0000CB20
	s_nop 1                                                    // 000000005C58: BF800001
	v_cndmask_b32_e64 v60, v178, v60, s[60:61]                 // 000000005C5C: D100003C 00F279B2
	v_cndmask_b32_e64 v72, v178, v72, s[60:61]                 // 000000005C64: D1000048 00F291B2
	v_cndmask_b32_e64 v61, v178, v61, s[60:61]                 // 000000005C6C: D100003D 00F27BB2
	v_cndmask_b32_e64 v73, v178, v73, s[60:61]                 // 000000005C74: D1000049 00F293B2
	v_cndmask_b32_e64 v62, v178, v62, s[60:61]                 // 000000005C7C: D100003E 00F27DB2
	v_cndmask_b32_e64 v74, v178, v74, s[60:61]                 // 000000005C84: D100004A 00F295B2
	v_cndmask_b32_e64 v63, v178, v63, s[60:61]                 // 000000005C8C: D100003F 00F27FB2
	v_cndmask_b32_e64 v75, v178, v75, s[60:61]                 // 000000005C94: D100004B 00F297B2
	s_branch label_07BA                                        // 000000005C9C: BF820009

0000000000005ca0 <label_07B1>:
	v_mov_b32_e32 v60, v178                                    // 000000005CA0: 7E7803B2
	v_mov_b32_e32 v72, v178                                    // 000000005CA4: 7E9003B2
	v_mov_b32_e32 v61, v178                                    // 000000005CA8: 7E7A03B2
	v_mov_b32_e32 v73, v178                                    // 000000005CAC: 7E9203B2
	v_mov_b32_e32 v62, v178                                    // 000000005CB0: 7E7C03B2
	v_mov_b32_e32 v74, v178                                    // 000000005CB4: 7E9403B2
	v_mov_b32_e32 v63, v178                                    // 000000005CB8: 7E7E03B2
	v_mov_b32_e32 v75, v178                                    // 000000005CBC: 7E9603B2
	s_branch label_07BA                                        // 000000005CC0: BF820000

0000000000005cc4 <label_07BA>:
	s_addk_i32 s74, 0x1                                        // 000000005CC4: B74A0001
	s_waitcnt lgkmcnt(8)                                       // 000000005CC8: BF8CC87F
	s_barrier                                                  // 000000005CCC: BF8A0000
	v_mfma_f32_16x16x16_f16 v[76:79], v[108:109], a[72:73], 0  // 000000005CD0: D3CD004C 1202916C
	ds_read_b128 a[96:99], v14 offset:4352                     // 000000005CD8: DBFE1100 6000000E
	ds_read_b128 a[100:103], v14 offset:4864                   // 000000005CE0: DBFE1300 6400000E
	v_mfma_f32_16x16x16_f16 v[76:79], v[110:111], a[74:75], v[76:79]// 000000005CE8: D3CD004C 1532956E
	v_fma_f32 v52, v52, s57, -v140                             // 000000005CF0: D1CB0034 86307334
	v_fma_f32 v53, v53, s57, -v141                             // 000000005CF8: D1CB0035 86347335
	v_fma_f32 v54, v54, s57, -v142                             // 000000005D00: D1CB0036 86387336
	v_fma_f32 v55, v55, s57, -v143                             // 000000005D08: D1CB0037 863C7337
	v_fma_f32 v56, v56, s57, -v140                             // 000000005D10: D1CB0038 86307338
	v_fma_f32 v57, v57, s57, -v141                             // 000000005D18: D1CB0039 86347339
	v_mfma_f32_16x16x16_f16 v[76:79], v[112:113], a[76:77], v[76:79]// 000000005D20: D3CD004C 15329970
	v_fma_f32 v58, v58, s57, -v142                             // 000000005D28: D1CB003A 8638733A
	v_fma_f32 v59, v59, s57, -v143                             // 000000005D30: D1CB003B 863C733B
	v_fma_f32 v60, v60, s57, -v140                             // 000000005D38: D1CB003C 8630733C
	v_fma_f32 v61, v61, s57, -v141                             // 000000005D40: D1CB003D 8634733D
	v_fma_f32 v62, v62, s57, -v142                             // 000000005D48: D1CB003E 8638733E
	v_fma_f32 v63, v63, s57, -v143                             // 000000005D50: D1CB003F 863C733F
	v_mfma_f32_16x16x16_f16 v[76:79], v[114:115], a[78:79], v[76:79]// 000000005D58: D3CD004C 15329D72
	v_fma_f32 v64, v64, s57, -v144                             // 000000005D60: D1CB0040 86407340
	v_fma_f32 v65, v65, s57, -v145                             // 000000005D68: D1CB0041 86447341
	v_fma_f32 v66, v66, s57, -v146                             // 000000005D70: D1CB0042 86487342
	v_fma_f32 v67, v67, s57, -v147                             // 000000005D78: D1CB0043 864C7343
	v_fma_f32 v68, v68, s57, -v144                             // 000000005D80: D1CB0044 86407344
	v_fma_f32 v69, v69, s57, -v145                             // 000000005D88: D1CB0045 86447345
	v_mfma_f32_16x16x16_f16 v[80:83], v[108:109], a[80:81], 0  // 000000005D90: D3CD0050 1202A16C
	ds_read_b128 a[104:107], v14 offset:6528                   // 000000005D98: DBFE1980 6800000E
	ds_read_b128 a[108:111], v14 offset:7040                   // 000000005DA0: DBFE1B80 6C00000E
	v_mfma_f32_16x16x16_f16 v[80:83], v[110:111], a[82:83], v[80:83]// 000000005DA8: D3CD0050 1542A56E
	v_fma_f32 v70, v70, s57, -v146                             // 000000005DB0: D1CB0046 86487346
	v_fma_f32 v71, v71, s57, -v147                             // 000000005DB8: D1CB0047 864C7347
	v_fma_f32 v72, v72, s57, -v144                             // 000000005DC0: D1CB0048 86407348
	v_fma_f32 v73, v73, s57, -v145                             // 000000005DC8: D1CB0049 86447349
	v_fma_f32 v74, v74, s57, -v146                             // 000000005DD0: D1CB004A 8648734A
	v_fma_f32 v75, v75, s57, -v147                             // 000000005DD8: D1CB004B 864C734B
	v_mfma_f32_16x16x16_f16 v[80:83], v[112:113], a[84:85], v[80:83]// 000000005DE0: D3CD0050 1542A970
	v_exp_f32_e32 v52, v52                                     // 000000005DE8: 7E684134
	v_exp_f32_e32 v53, v53                                     // 000000005DEC: 7E6A4135
	v_mfma_f32_16x16x16_f16 v[80:83], v[114:115], a[86:87], v[80:83]// 000000005DF0: D3CD0050 1542AD72
	v_exp_f32_e32 v54, v54                                     // 000000005DF8: 7E6C4136
	v_exp_f32_e32 v55, v55                                     // 000000005DFC: 7E6E4137
	v_mfma_f32_16x16x16_f16 v[84:87], v[108:109], a[88:89], 0  // 000000005E00: D3CD0054 1202B16C
	ds_read_b64 v[156:157], v21 offset:31232                   // 000000005E08: D8EC7A00 9C000015
	ds_read_b64 v[158:159], v21 offset:33280                   // 000000005E10: D8EC8200 9E000015
	v_mfma_f32_16x16x16_f16 v[84:87], v[110:111], a[90:91], v[84:87]// 000000005E18: D3CD0054 1552B56E
	v_exp_f32_e32 v56, v56                                     // 000000005E20: 7E704138
	v_exp_f32_e32 v57, v57                                     // 000000005E24: 7E724139
	v_mfma_f32_16x16x16_f16 v[84:87], v[112:113], a[92:93], v[84:87]// 000000005E28: D3CD0054 1552B970
	ds_read_b64 v[160:161], v21 offset:35328                   // 000000005E30: D8EC8A00 A0000015
	ds_read_b64 v[162:163], v21 offset:37376                   // 000000005E38: D8EC9200 A2000015
	v_mfma_f32_16x16x16_f16 v[84:87], v[114:115], a[94:95], v[84:87]// 000000005E40: D3CD0054 1552BD72
	v_exp_f32_e32 v58, v58                                     // 000000005E48: 7E74413A
	v_exp_f32_e32 v59, v59                                     // 000000005E4C: 7E76413B
	v_mfma_f32_16x16x16_f16 v[88:91], v[116:117], a[72:73], 0  // 000000005E50: D3CD0058 12029174
	v_exp_f32_e32 v60, v60                                     // 000000005E58: 7E78413C
	v_exp_f32_e32 v61, v61                                     // 000000005E5C: 7E7A413D
	v_mfma_f32_16x16x16_f16 v[88:91], v[118:119], a[74:75], v[88:91]// 000000005E60: D3CD0058 15629576
	v_exp_f32_e32 v62, v62                                     // 000000005E68: 7E7C413E
	v_exp_f32_e32 v63, v63                                     // 000000005E6C: 7E7E413F
	v_mfma_f32_16x16x16_f16 v[88:91], v[120:121], a[76:77], v[88:91]// 000000005E70: D3CD0058 15629978
	v_exp_f32_e32 v64, v64                                     // 000000005E78: 7E804140
	v_exp_f32_e32 v65, v65                                     // 000000005E7C: 7E824141
	v_mfma_f32_16x16x16_f16 v[88:91], v[122:123], a[78:79], v[88:91]// 000000005E80: D3CD0058 15629D7A
	v_exp_f32_e32 v66, v66                                     // 000000005E88: 7E844142
	v_exp_f32_e32 v67, v67                                     // 000000005E8C: 7E864143
	v_mfma_f32_16x16x16_f16 v[92:95], v[116:117], a[80:81], 0  // 000000005E90: D3CD005C 1202A174
	v_exp_f32_e32 v68, v68                                     // 000000005E98: 7E884144
	v_exp_f32_e32 v69, v69                                     // 000000005E9C: 7E8A4145
	v_mfma_f32_16x16x16_f16 v[92:95], v[118:119], a[82:83], v[92:95]// 000000005EA0: D3CD005C 1572A576
	v_exp_f32_e32 v70, v70                                     // 000000005EA8: 7E8C4146
	v_exp_f32_e32 v71, v71                                     // 000000005EAC: 7E8E4147
	v_mfma_f32_16x16x16_f16 v[92:95], v[120:121], a[84:85], v[92:95]// 000000005EB0: D3CD005C 1572A978
	v_exp_f32_e32 v72, v72                                     // 000000005EB8: 7E904148
	v_exp_f32_e32 v73, v73                                     // 000000005EBC: 7E924149
	v_mfma_f32_16x16x16_f16 v[92:95], v[122:123], a[86:87], v[92:95]// 000000005EC0: D3CD005C 1572AD7A
	v_exp_f32_e32 v74, v74                                     // 000000005EC8: 7E94414A
	v_exp_f32_e32 v75, v75                                     // 000000005ECC: 7E96414B
	v_mfma_f32_16x16x16_f16 v[96:99], v[116:117], a[88:89], 0  // 000000005ED0: D3CD0060 1202B174
	v_cvt_pkrtz_f16_f32 v164, v52, v53                         // 000000005ED8: D29600A4 00026B34
	v_cvt_pkrtz_f16_f32 v165, v54, v55                         // 000000005EE0: D29600A5 00026F36
	v_cvt_pkrtz_f16_f32 v166, v56, v57                         // 000000005EE8: D29600A6 00027338
	v_cvt_pkrtz_f16_f32 v167, v58, v59                         // 000000005EF0: D29600A7 0002773A
	v_cvt_pkrtz_f16_f32 v168, v60, v61                         // 000000005EF8: D29600A8 00027B3C
	v_cvt_pkrtz_f16_f32 v169, v62, v63                         // 000000005F00: D29600A9 00027F3E
	v_mfma_f32_16x16x16_f16 v[96:99], v[118:119], a[90:91], v[96:99]// 000000005F08: D3CD0060 1582B576
	v_cvt_pkrtz_f16_f32 v170, v64, v65                         // 000000005F10: D29600AA 00028340
	v_cvt_pkrtz_f16_f32 v171, v66, v67                         // 000000005F18: D29600AB 00028742
	v_cvt_pkrtz_f16_f32 v172, v68, v69                         // 000000005F20: D29600AC 00028B44
	v_cvt_pkrtz_f16_f32 v173, v70, v71                         // 000000005F28: D29600AD 00028F46
	v_cvt_pkrtz_f16_f32 v174, v72, v73                         // 000000005F30: D29600AE 00029348
	v_cvt_pkrtz_f16_f32 v175, v74, v75                         // 000000005F38: D29600AF 0002974A
	v_mfma_f32_16x16x16_f16 v[96:99], v[120:121], a[92:93], v[96:99]// 000000005F40: D3CD0060 1582B978
	v_add_u32_e32 v6, s66, v6                                  // 000000005F48: 680C0C42
	v_add_u32_e32 v7, s66, v7                                  // 000000005F4C: 680E0E42
	v_add_u32_e32 v8, s66, v8                                  // 000000005F50: 68101042
	v_add_u32_e32 v9, s66, v9                                  // 000000005F54: 68121242
	v_mfma_f32_16x16x16_f16 v[96:99], v[122:123], a[94:95], v[96:99]// 000000005F58: D3CD0060 1582BD7A
	s_waitcnt lgkmcnt(0)                                       // 000000005F60: BF8CC07F
	s_barrier                                                  // 000000005F64: BF8A0000
	v_mfma_f32_16x16x16_f16 v[180:183], v[124:125], v[164:165], v[180:183]// 000000005F68: D3CD00B4 06D3497C
	v_subrev_f32_dpp v76, v176, v76 quad_perm:[0,0,0,0] row_mask:0xf bank_mask:0xf// 000000005F70: 069898FA FF0000B0
	v_subrev_f32_dpp v77, v176, v77 quad_perm:[1,1,1,1] row_mask:0xf bank_mask:0xf// 000000005F78: 069A9AFA FF0055B0
	v_subrev_f32_dpp v78, v176, v78 quad_perm:[2,2,2,2] row_mask:0xf bank_mask:0xf// 000000005F80: 069C9CFA FF00AAB0
	v_subrev_f32_dpp v79, v176, v79 quad_perm:[3,3,3,3] row_mask:0xf bank_mask:0xf// 000000005F88: 069E9EFA FF00FFB0
	v_subrev_f32_dpp v80, v176, v80 quad_perm:[0,0,0,0] row_mask:0xf bank_mask:0xf// 000000005F90: 06A0A0FA FF0000B0
	v_subrev_f32_dpp v81, v176, v81 quad_perm:[1,1,1,1] row_mask:0xf bank_mask:0xf// 000000005F98: 06A2A2FA FF0055B0
	v_mfma_f32_16x16x16_f16 v[184:187], v[126:127], v[164:165], v[184:187]// 000000005FA0: D3CD00B8 06E3497E
	v_subrev_f32_dpp v82, v176, v82 quad_perm:[2,2,2,2] row_mask:0xf bank_mask:0xf// 000000005FA8: 06A4A4FA FF00AAB0
	v_subrev_f32_dpp v83, v176, v83 quad_perm:[3,3,3,3] row_mask:0xf bank_mask:0xf// 000000005FB0: 06A6A6FA FF00FFB0
	v_subrev_f32_dpp v84, v176, v84 quad_perm:[0,0,0,0] row_mask:0xf bank_mask:0xf// 000000005FB8: 06A8A8FA FF0000B0
	v_subrev_f32_dpp v85, v176, v85 quad_perm:[1,1,1,1] row_mask:0xf bank_mask:0xf// 000000005FC0: 06AAAAFA FF0055B0
	v_subrev_f32_dpp v86, v176, v86 quad_perm:[2,2,2,2] row_mask:0xf bank_mask:0xf// 000000005FC8: 06ACACFA FF00AAB0
	v_subrev_f32_dpp v87, v176, v87 quad_perm:[3,3,3,3] row_mask:0xf bank_mask:0xf// 000000005FD0: 06AEAEFA FF00FFB0
	v_mfma_f32_16x16x16_f16 v[188:191], v[128:129], v[164:165], v[188:191]// 000000005FD8: D3CD00BC 06F34980
	v_mul_f32_e32 v76, v52, v76                                // 000000005FE0: 0A989934
	v_mul_f32_e32 v77, v53, v77                                // 000000005FE4: 0A9A9B35
	v_mul_f32_e32 v78, v54, v78                                // 000000005FE8: 0A9C9D36
	v_mul_f32_e32 v79, v55, v79                                // 000000005FEC: 0A9E9F37
	v_mul_f32_e32 v80, v56, v80                                // 000000005FF0: 0AA0A138
	v_mul_f32_e32 v81, v57, v81                                // 000000005FF4: 0AA2A339
	v_mfma_f32_16x16x16_f16 v[192:195], v[130:131], v[164:165], v[192:195]// 000000005FF8: D3CD00C0 07034982
	v_mul_f32_e32 v82, v58, v82                                // 000000006000: 0AA4A53A
	v_mul_f32_e32 v83, v59, v83                                // 000000006004: 0AA6A73B
	v_mul_f32_e32 v84, v60, v84                                // 000000006008: 0AA8A93C
	v_mul_f32_e32 v85, v61, v85                                // 00000000600C: 0AAAAB3D
	v_mul_f32_e32 v86, v62, v86                                // 000000006010: 0AACAD3E
	v_mul_f32_e32 v87, v63, v87                                // 000000006014: 0AAEAF3F
	v_mfma_f32_16x16x16_f16 v[196:199], v[124:125], v[166:167], v[196:199]// 000000006018: D3CD00C4 07134D7C
	v_cvt_pkrtz_f16_f32 v76, v76, v77                          // 000000006020: D296004C 00029B4C
	v_cvt_pkrtz_f16_f32 v77, v78, v79                          // 000000006028: D296004D 00029F4E
	v_cvt_pkrtz_f16_f32 v78, v80, v81                          // 000000006030: D296004E 0002A350
	v_cvt_pkrtz_f16_f32 v79, v82, v83                          // 000000006038: D296004F 0002A752
	v_cvt_pkrtz_f16_f32 v80, v84, v85                          // 000000006040: D2960050 0002AB54
	v_cvt_pkrtz_f16_f32 v81, v86, v87                          // 000000006048: D2960051 0002AF56
	v_mfma_f32_16x16x16_f16 v[200:203], v[126:127], v[166:167], v[200:203]// 000000006050: D3CD00C8 07234D7E
	v_mov_b32_dpp v18, v76 quad_perm:[1,0,3,2] row_mask:0xf bank_mask:0xf// 000000006058: 7E2402FA FF00B14C
	v_perm_b32 v52, v18, v76, v17                              // 000000006060: D1ED0034 04469912
	v_mov_b32_dpp v18, v77 quad_perm:[1,0,3,2] row_mask:0xf bank_mask:0xf// 000000006068: 7E2402FA FF00B14D
	v_perm_b32 v53, v18, v77, v17                              // 000000006070: D1ED0035 04469B12
	v_mov_b32_dpp v18, v78 quad_perm:[1,0,3,2] row_mask:0xf bank_mask:0xf// 000000006078: 7E2402FA FF00B14E
	v_perm_b32 v54, v18, v78, v17                              // 000000006080: D1ED0036 04469D12
	v_mfma_f32_16x16x16_f16 v[204:207], v[128:129], v[166:167], v[204:207]// 000000006088: D3CD00CC 07334D80
	v_mov_b32_dpp v18, v79 quad_perm:[1,0,3,2] row_mask:0xf bank_mask:0xf// 000000006090: 7E2402FA FF00B14F
	v_perm_b32 v55, v18, v79, v17                              // 000000006098: D1ED0037 04469F12
	v_mov_b32_dpp v18, v80 quad_perm:[1,0,3,2] row_mask:0xf bank_mask:0xf// 0000000060A0: 7E2402FA FF00B150
	v_perm_b32 v56, v18, v80, v17                              // 0000000060A8: D1ED0038 0446A112
	v_mov_b32_dpp v18, v81 quad_perm:[1,0,3,2] row_mask:0xf bank_mask:0xf// 0000000060B0: 7E2402FA FF00B151
	v_perm_b32 v57, v18, v81, v17                              // 0000000060B8: D1ED0039 0446A312
	v_mfma_f32_16x16x16_f16 v[208:211], v[130:131], v[166:167], v[208:211]// 0000000060C0: D3CD00D0 07434D82
	ds_write_b32 v20, v52 offset:17408                         // 0000000060C8: D81A4400 00003414
	ds_write_b32 v20, v53 offset:17952                         // 0000000060D0: D81A4620 00003514
	v_mfma_f32_16x16x16_f16 v[212:215], v[124:125], v[168:169], v[212:215]// 0000000060D8: D3CD00D4 0753517C
	v_subrev_f32_dpp v88, v177, v88 quad_perm:[0,0,0,0] row_mask:0xf bank_mask:0xf// 0000000060E0: 06B0B0FA FF0000B1
	v_subrev_f32_dpp v89, v177, v89 quad_perm:[1,1,1,1] row_mask:0xf bank_mask:0xf// 0000000060E8: 06B2B2FA FF0055B1
	v_subrev_f32_dpp v90, v177, v90 quad_perm:[2,2,2,2] row_mask:0xf bank_mask:0xf// 0000000060F0: 06B4B4FA FF00AAB1
	v_subrev_f32_dpp v91, v177, v91 quad_perm:[3,3,3,3] row_mask:0xf bank_mask:0xf// 0000000060F8: 06B6B6FA FF00FFB1
	v_subrev_f32_dpp v92, v177, v92 quad_perm:[0,0,0,0] row_mask:0xf bank_mask:0xf// 000000006100: 06B8B8FA FF0000B1
	v_subrev_f32_dpp v93, v177, v93 quad_perm:[1,1,1,1] row_mask:0xf bank_mask:0xf// 000000006108: 06BABAFA FF0055B1
	v_mfma_f32_16x16x16_f16 v[216:219], v[126:127], v[168:169], v[216:219]// 000000006110: D3CD00D8 0763517E
	ds_write_b32 v20, v54 offset:19712                         // 000000006118: D81A4D00 00003614
	ds_write_b32 v20, v55 offset:20256                         // 000000006120: D81A4F20 00003714
	v_mfma_f32_16x16x16_f16 v[220:223], v[128:129], v[168:169], v[220:223]// 000000006128: D3CD00DC 07735180
	v_subrev_f32_dpp v94, v177, v94 quad_perm:[2,2,2,2] row_mask:0xf bank_mask:0xf// 000000006130: 06BCBCFA FF00AAB1
	v_subrev_f32_dpp v95, v177, v95 quad_perm:[3,3,3,3] row_mask:0xf bank_mask:0xf// 000000006138: 06BEBEFA FF00FFB1
	v_subrev_f32_dpp v96, v177, v96 quad_perm:[0,0,0,0] row_mask:0xf bank_mask:0xf// 000000006140: 06C0C0FA FF0000B1
	v_subrev_f32_dpp v97, v177, v97 quad_perm:[1,1,1,1] row_mask:0xf bank_mask:0xf// 000000006148: 06C2C2FA FF0055B1
	v_subrev_f32_dpp v98, v177, v98 quad_perm:[2,2,2,2] row_mask:0xf bank_mask:0xf// 000000006150: 06C4C4FA FF00AAB1
	v_subrev_f32_dpp v99, v177, v99 quad_perm:[3,3,3,3] row_mask:0xf bank_mask:0xf// 000000006158: 06C6C6FA FF00FFB1
	v_mfma_f32_16x16x16_f16 v[224:227], v[130:131], v[168:169], v[224:227]// 000000006160: D3CD00E0 07835182
	ds_write_b32 v20, v56 offset:22016                         // 000000006168: D81A5600 00003814
	ds_write_b32 v20, v57 offset:22560                         // 000000006170: D81A5820 00003914
	v_mfma_f32_16x16x16_f16 v[180:183], v[132:133], v[170:171], v[180:183]// 000000006178: D3CD00B4 06D35584
	v_mul_f32_e32 v88, v64, v88                                // 000000006180: 0AB0B140
	v_mul_f32_e32 v89, v65, v89                                // 000000006184: 0AB2B341
	v_mul_f32_e32 v90, v66, v90                                // 000000006188: 0AB4B542
	v_mul_f32_e32 v91, v67, v91                                // 00000000618C: 0AB6B743
	v_mul_f32_e32 v92, v68, v92                                // 000000006190: 0AB8B944
	v_mul_f32_e32 v93, v69, v93                                // 000000006194: 0ABABB45
	v_mfma_f32_16x16x16_f16 v[184:187], v[134:135], v[170:171], v[184:187]// 000000006198: D3CD00B8 06E35586
	v_mul_f32_e32 v94, v70, v94                                // 0000000061A0: 0ABCBD46
	v_mul_f32_e32 v95, v71, v95                                // 0000000061A4: 0ABEBF47
	v_mul_f32_e32 v96, v72, v96                                // 0000000061A8: 0AC0C148
	v_mul_f32_e32 v97, v73, v97                                // 0000000061AC: 0AC2C349
	v_mul_f32_e32 v98, v74, v98                                // 0000000061B0: 0AC4C54A
	v_mul_f32_e32 v99, v75, v99                                // 0000000061B4: 0AC6C74B
	v_mfma_f32_16x16x16_f16 v[188:191], v[136:137], v[170:171], v[188:191]// 0000000061B8: D3CD00BC 06F35588
	v_cvt_pkrtz_f16_f32 v82, v88, v89                          // 0000000061C0: D2960052 0002B358
	v_cvt_pkrtz_f16_f32 v83, v90, v91                          // 0000000061C8: D2960053 0002B75A
	v_cvt_pkrtz_f16_f32 v84, v92, v93                          // 0000000061D0: D2960054 0002BB5C
	v_cvt_pkrtz_f16_f32 v85, v94, v95                          // 0000000061D8: D2960055 0002BF5E
	v_cvt_pkrtz_f16_f32 v86, v96, v97                          // 0000000061E0: D2960056 0002C360
	v_cvt_pkrtz_f16_f32 v87, v98, v99                          // 0000000061E8: D2960057 0002C762
	v_mfma_f32_16x16x16_f16 v[192:195], v[138:139], v[170:171], v[192:195]// 0000000061F0: D3CD00C0 0703558A
	v_mov_b32_dpp v18, v82 quad_perm:[1,0,3,2] row_mask:0xf bank_mask:0xf// 0000000061F8: 7E2402FA FF00B152
	v_perm_b32 v58, v18, v82, v17                              // 000000006200: D1ED003A 0446A512
	v_mov_b32_dpp v18, v83 quad_perm:[1,0,3,2] row_mask:0xf bank_mask:0xf// 000000006208: 7E2402FA FF00B153
	v_perm_b32 v59, v18, v83, v17                              // 000000006210: D1ED003B 0446A712
	v_mov_b32_dpp v18, v84 quad_perm:[1,0,3,2] row_mask:0xf bank_mask:0xf// 000000006218: 7E2402FA FF00B154
	v_perm_b32 v60, v18, v84, v17                              // 000000006220: D1ED003C 0446A912
	v_mfma_f32_16x16x16_f16 v[196:199], v[132:133], v[172:173], v[196:199]// 000000006228: D3CD00C4 07135984
	v_mov_b32_dpp v18, v85 quad_perm:[1,0,3,2] row_mask:0xf bank_mask:0xf// 000000006230: 7E2402FA FF00B155
	v_perm_b32 v61, v18, v85, v17                              // 000000006238: D1ED003D 0446AB12
	v_mov_b32_dpp v18, v86 quad_perm:[1,0,3,2] row_mask:0xf bank_mask:0xf// 000000006240: 7E2402FA FF00B156
	v_perm_b32 v62, v18, v86, v17                              // 000000006248: D1ED003E 0446AD12
	v_mov_b32_dpp v18, v87 quad_perm:[1,0,3,2] row_mask:0xf bank_mask:0xf// 000000006250: 7E2402FA FF00B157
	v_perm_b32 v63, v18, v87, v17                              // 000000006258: D1ED003F 0446AF12
	v_mfma_f32_16x16x16_f16 v[200:203], v[134:135], v[172:173], v[200:203]// 000000006260: D3CD00C8 07235986
	ds_write_b32 v20, v58 offset:24320                         // 000000006268: D81A5F00 00003A14
	ds_write_b32 v20, v59 offset:24864                         // 000000006270: D81A6120 00003B14
	v_mfma_f32_16x16x16_f16 v[204:207], v[136:137], v[172:173], v[204:207]// 000000006278: D3CD00CC 07335988
	v_mfma_f32_16x16x16_f16 v[208:211], v[138:139], v[172:173], v[208:211]// 000000006280: D3CD00D0 0743598A
	ds_write_b32 v20, v60 offset:26624                         // 000000006288: D81A6800 00003C14
	ds_write_b32 v20, v61 offset:27168                         // 000000006290: D81A6A20 00003D14
	ds_write_b32 v20, v62 offset:28928                         // 000000006298: D81A7100 00003E14
	ds_write_b32 v20, v63 offset:29472                         // 0000000062A0: D81A7320 00003F14
	v_mfma_f32_16x16x16_f16 v[212:215], v[132:133], v[174:175], v[212:215]// 0000000062A8: D3CD00D4 07535D84
	v_mfma_f32_16x16x16_f16 v[216:219], v[134:135], v[174:175], v[216:219]// 0000000062B0: D3CD00D8 07635D86
	ds_write_b32 v15, v100 offset:4352                         // 0000000062B8: D81A1100 0000640F
	ds_write_b32 v15, v101 offset:5408                         // 0000000062C0: D81A1520 0000650F
	v_mfma_f32_16x16x16_f16 v[220:223], v[136:137], v[174:175], v[220:223]// 0000000062C8: D3CD00DC 07735D88
	s_nop 0                                                    // 0000000062D0: BF800000
	s_nop 0                                                    // 0000000062D4: BF800000
	s_nop 0                                                    // 0000000062D8: BF800000
	v_mfma_f32_16x16x16_f16 v[224:227], v[138:139], v[174:175], v[224:227]// 0000000062DC: D3CD00E0 07835D8A
	ds_write_b32 v15, v102 offset:6528                         // 0000000062E4: D81A1980 0000660F
	ds_write_b32 v15, v103 offset:7584                         // 0000000062EC: D81A1DA0 0000670F
	s_barrier                                                  // 0000000062F4: BF8A0000
	v_mfma_f32_16x16x16_f16 a[112:115], a[96:97], v[76:77], a[112:115]// 0000000062F8: D3CD8070 0DC29960
	buffer_atomic_add_f32 v156, v6, s[32:35], 0 idxen          // 000000006300: E1342000 80089C06
	v_mfma_f32_16x16x16_f16 a[116:119], a[98:99], v[76:77], a[116:119]// 000000006308: D3CD8074 0DD29962
	ds_read_b32 v140, v23 offset:39936                         // 000000006310: D86C9C00 8C000017
	ds_read_b32 v144, v23 offset:40000                         // 000000006318: D86C9C40 90000017
	ds_read_b32 v176, v23 offset:40192                         // 000000006320: D86C9D00 B0000017
	ds_read_b32 v177, v23 offset:40256                         // 000000006328: D86C9D40 B1000017
	v_mfma_f32_16x16x16_f16 a[120:123], a[100:101], v[76:77], a[120:123]// 000000006330: D3CD8078 0DE29964
	s_waitcnt lgkmcnt(8)                                       // 000000006338: BF8CC87F
	s_barrier                                                  // 00000000633C: BF8A0000
	v_mfma_f32_16x16x16_f16 a[124:127], a[102:103], v[76:77], a[124:127]// 000000006340: D3CD807C 0DF29966
	ds_read_b128 v[52:55], v19 offset:17408                    // 000000006348: D9FE4400 34000013
	v_mfma_f32_16x16x16_f16 a[128:131], a[96:97], v[78:79], a[128:131]// 000000006350: D3CD8080 0E029D60
	v_mfma_f32_16x16x16_f16 a[132:135], a[98:99], v[78:79], a[132:135]// 000000006358: D3CD8084 0E129D62
	ds_read_b128 v[56:59], v19 offset:18560                    // 000000006360: D9FE4880 38000013
	v_mfma_f32_16x16x16_f16 a[136:139], a[100:101], v[78:79], a[136:139]// 000000006368: D3CD8088 0E229D64
	buffer_atomic_add_f32 v157, v7, s[32:35], 0 idxen          // 000000006370: E1342000 80089D07
	v_mfma_f32_16x16x16_f16 a[140:143], a[102:103], v[78:79], a[140:143]// 000000006378: D3CD808C 0E329D66
	ds_read_b128 v[60:63], v19 offset:19712                    // 000000006380: D9FE4D00 3C000013
	v_mfma_f32_16x16x16_f16 a[144:147], a[96:97], v[80:81], a[144:147]// 000000006388: D3CD8090 0E42A160
	v_mfma_f32_16x16x16_f16 a[148:151], a[98:99], v[80:81], a[148:151]// 000000006390: D3CD8094 0E52A162
	ds_read_b128 v[64:67], v19 offset:20864                    // 000000006398: D9FE5180 40000013
	v_mfma_f32_16x16x16_f16 a[152:155], a[100:101], v[80:81], a[152:155]// 0000000063A0: D3CD8098 0E62A164
	v_mfma_f32_16x16x16_f16 a[156:159], a[102:103], v[80:81], a[156:159]// 0000000063A8: D3CD809C 0E72A166
	ds_read_b128 v[68:71], v19 offset:22016                    // 0000000063B0: D9FE5600 44000013
	v_mfma_f32_16x16x16_f16 a[112:115], a[104:105], v[82:83], a[112:115]// 0000000063B8: D3CD8070 0DC2A568
	buffer_atomic_add_f32 v158, v6, s[32:35], 0 idxen offset:128// 0000000063C0: E1342080 80089E06
	v_mfma_f32_16x16x16_f16 a[116:119], a[106:107], v[82:83], a[116:119]// 0000000063C8: D3CD8074 0DD2A56A
	ds_read_b128 v[72:75], v19 offset:23168                    // 0000000063D0: D9FE5A80 48000013
	v_mfma_f32_16x16x16_f16 a[120:123], a[108:109], v[82:83], a[120:123]// 0000000063D8: D3CD8078 0DE2A56C
	v_mfma_f32_16x16x16_f16 a[124:127], a[110:111], v[82:83], a[124:127]// 0000000063E0: D3CD807C 0DF2A56E
	ds_write_b32 v15, v104 offset:13056                        // 0000000063E8: D81A3300 0000680F
	v_mfma_f32_16x16x16_f16 a[128:131], a[104:105], v[84:85], a[128:131]// 0000000063F0: D3CD8080 0E02A968
	v_mfma_f32_16x16x16_f16 a[132:135], a[106:107], v[84:85], a[132:135]// 0000000063F8: D3CD8084 0E12A96A
	ds_write_b32 v15, v105 offset:14112                        // 000000006400: D81A3720 0000690F
	v_mfma_f32_16x16x16_f16 a[136:139], a[108:109], v[84:85], a[136:139]// 000000006408: D3CD8088 0E22A96C
	buffer_atomic_add_f32 v159, v7, s[32:35], 0 idxen offset:128// 000000006410: E1342080 80089F07
	v_mfma_f32_16x16x16_f16 a[140:143], a[110:111], v[84:85], a[140:143]// 000000006418: D3CD808C 0E32A96E
	ds_write_b32 v15, v106 offset:15232                        // 000000006420: D81A3B80 00006A0F
	v_mfma_f32_16x16x16_f16 a[144:147], a[104:105], v[86:87], a[144:147]// 000000006428: D3CD8090 0E42AD68
	v_mfma_f32_16x16x16_f16 a[148:151], a[106:107], v[86:87], a[148:151]// 000000006430: D3CD8094 0E52AD6A
	ds_write_b32 v15, v107 offset:16288                        // 000000006438: D81A3FA0 00006B0F
	v_mfma_f32_16x16x16_f16 a[152:155], a[108:109], v[86:87], a[152:155]// 000000006440: D3CD8098 0E62AD6C
	v_mfma_f32_16x16x16_f16 a[156:159], a[110:111], v[86:87], a[156:159]// 000000006448: D3CD809C 0E72AD6E
	s_waitcnt vmcnt(8) lgkmcnt(4)                              // 000000006450: BF8C0478
	s_barrier                                                  // 000000006454: BF8A0000
	v_mfma_f32_16x16x16_f16 v[148:151], v[52:53], a[24:25], 0  // 000000006458: D3CD0094 12023134
	v_mul_f32_e32 v140, s48, v140                              // 000000006460: 0B191830
	v_mul_f32_e32 v144, s48, v144                              // 000000006464: 0B212030
	s_nop 0                                                    // 000000006468: BF800000
	v_mfma_f32_16x16x16_f16 v[148:151], v[54:55], a[28:29], v[148:151]// 00000000646C: D3CD0094 16523936
	ds_read_b128 a[96:99], v12                                 // 000000006474: DBFE0000 6000000C
	buffer_load_dword v40, v1, s[8:11], 0 idxen                // 00000000647C: E0502000 80022801
	v_mfma_f32_16x16x16_f16 v[148:151], v[56:57], a[32:33], v[148:151]// 000000006484: D3CD0094 16524138
	v_mfma_f32_16x16x16_f16 v[148:151], v[58:59], a[36:37], v[148:151]// 00000000648C: D3CD0094 1652493A
	ds_read_b128 a[100:103], v12 offset:512                    // 000000006494: DBFE0200 6400000C
	buffer_load_dword v41, v2, s[8:11], 0 idxen                // 00000000649C: E0502000 80022902
	v_mfma_f32_16x16x16_f16 v[148:151], v[60:61], a[40:41], v[148:151]// 0000000064A4: D3CD0094 1652513C
	v_perm_b32 v100, v37, v36, s63                             // 0000000064AC: D1ED0064 00FE4925
	v_perm_b32 v101, v37, v36, s64                             // 0000000064B4: D1ED0065 01024925
	v_mfma_f32_16x16x16_f16 v[148:151], v[62:63], a[44:45], v[148:151]// 0000000064BC: D3CD0094 1652593E
	ds_read_b128 a[104:107], v12 offset:2176                   // 0000000064C4: DBFE0880 6800000C
	buffer_load_dword v42, v3, s[8:11], 0 idxen                // 0000000064CC: E0502000 80022A03
	v_mfma_f32_16x16x16_f16 v[148:151], v[64:65], a[48:49], v[148:151]// 0000000064D4: D3CD0094 16526140
	v_perm_b32 v102, v39, v38, s63                             // 0000000064DC: D1ED0066 00FE4D27
	v_perm_b32 v103, v39, v38, s64                             // 0000000064E4: D1ED0067 01024D27
	v_mfma_f32_16x16x16_f16 v[148:151], v[66:67], a[52:53], v[148:151]// 0000000064EC: D3CD0094 16526942
	ds_read_b128 a[108:111], v12 offset:2688                   // 0000000064F4: DBFE0A80 6C00000C
	buffer_load_dword v43, v4, s[8:11], 0 idxen                // 0000000064FC: E0502000 80022B04
	v_mfma_f32_16x16x16_f16 v[148:151], v[68:69], a[56:57], v[148:151]// 000000006504: D3CD0094 16527144
	v_perm_b32 v104, v45, v44, s63                             // 00000000650C: D1ED0068 00FE592D
	v_perm_b32 v105, v45, v44, s64                             // 000000006514: D1ED0069 0102592D
	v_mfma_f32_16x16x16_f16 v[148:151], v[70:71], a[60:61], v[148:151]// 00000000651C: D3CD0094 16527946
	ds_read_b128 v[108:111], v12 offset:8704                   // 000000006524: D9FE2200 6C00000C
	buffer_load_dword v48, v228, s[20:23], 0 idxen             // 00000000652C: E0502000 800530E4
	v_mfma_f32_16x16x16_f16 v[148:151], v[72:73], a[64:65], v[148:151]// 000000006534: D3CD0094 16528148
	v_perm_b32 v106, v47, v46, s63                             // 00000000653C: D1ED006A 00FE5D2F
	v_perm_b32 v107, v47, v46, s64                             // 000000006544: D1ED006B 01025D2F
	v_mfma_f32_16x16x16_f16 v[148:151], v[74:75], a[68:69], v[148:151]// 00000000654C: D3CD0094 1652894A
	ds_read_b128 v[112:115], v12 offset:9216                   // 000000006554: D9FE2400 7000000C
	buffer_load_dword v49, v229, s[20:23], 0 idxen             // 00000000655C: E0502000 800531E5
	v_mfma_f32_16x16x16_f16 v[152:155], v[52:53], a[26:27], 0  // 000000006564: D3CD0098 12023534
	v_mov_b32_dpp v143, v140 quad_perm:[3,3,3,3] row_mask:0xf bank_mask:0xf// 00000000656C: 7F1E02FA FF00FF8C
	v_mov_b32_dpp v142, v140 quad_perm:[2,2,2,2] row_mask:0xf bank_mask:0xf// 000000006574: 7F1C02FA FF00AA8C
	v_mov_b32_dpp v141, v140 quad_perm:[1,1,1,1] row_mask:0xf bank_mask:0xf// 00000000657C: 7F1A02FA FF00558C
	v_mov_b32_dpp v140, v140 quad_perm:[0,0,0,0] row_mask:0xf bank_mask:0xf// 000000006584: 7F1802FA FF00008C
	v_mfma_f32_16x16x16_f16 v[152:155], v[54:55], a[30:31], v[152:155]// 00000000658C: D3CD0098 16623D36
	ds_read_b128 v[116:119], v12 offset:10880                  // 000000006594: D9FE2A80 7400000C
	buffer_load_dword v50, v230, s[20:23], 0 idxen             // 00000000659C: E0502000 800532E6
	v_mfma_f32_16x16x16_f16 v[152:155], v[56:57], a[34:35], v[152:155]// 0000000065A4: D3CD0098 16624538
	v_mov_b32_dpp v147, v144 quad_perm:[3,3,3,3] row_mask:0xf bank_mask:0xf// 0000000065AC: 7F2602FA FF00FF90
	v_mov_b32_dpp v146, v144 quad_perm:[2,2,2,2] row_mask:0xf bank_mask:0xf// 0000000065B4: 7F2402FA FF00AA90
	v_mov_b32_dpp v145, v144 quad_perm:[1,1,1,1] row_mask:0xf bank_mask:0xf// 0000000065BC: 7F2202FA FF005590
	v_mov_b32_dpp v144, v144 quad_perm:[0,0,0,0] row_mask:0xf bank_mask:0xf// 0000000065C4: 7F2002FA FF000090
	s_add_u32 s60, 0x80, s59                                   // 0000000065CC: 803C3BFF 00000080
	v_mfma_f32_16x16x16_f16 v[152:155], v[58:59], a[38:39], v[152:155]// 0000000065D4: D3CD0098 16624D3A
	ds_read_b128 v[120:123], v12 offset:11392                  // 0000000065DC: D9FE2C80 7800000C
	buffer_load_dword v51, v231, s[20:23], 0 idxen             // 0000000065E4: E0502000 800533E7
	v_mfma_f32_16x16x16_f16 v[152:155], v[60:61], a[42:43], v[152:155]// 0000000065EC: D3CD0098 1662553C
	s_cmp_lt_u32 s60, s58                                      // 0000000065F4: BF0A3A3C
	s_cselect_b32 s68, s68, 0                                  // 0000000065F8: 85448044
	s_cselect_b32 s99, s99, 0                                  // 0000000065FC: 85638063
	s_cselect_b32 s69, s69, 0                                  // 000000006600: 85458045
	v_mfma_f32_16x16x16_f16 v[152:155], v[62:63], a[46:47], v[152:155]// 000000006604: D3CD0098 16625D3E
	buffer_load_dword v11, s[24:27], 0 idxen lds               // 00000000660C: E0512000 8006000B
	v_mfma_f32_16x16x16_f16 v[152:155], v[64:65], a[50:51], v[152:155]// 000000006614: D3CD0098 16626540
	v_add_u32_e32 v1, s68, v1                                  // 00000000661C: 68020244
	v_add_u32_e32 v2, s68, v2                                  // 000000006620: 68040444
	v_add_u32_e32 v3, s68, v3                                  // 000000006624: 68060644
	v_add_u32_e32 v4, s68, v4                                  // 000000006628: 68080844
	v_mfma_f32_16x16x16_f16 v[152:155], v[66:67], a[54:55], v[152:155]// 00000000662C: D3CD0098 16626D42
	v_add_u32_e32 v228, s99, v228                              // 000000006634: 69C9C863
	v_add_u32_e32 v229, s99, v229                              // 000000006638: 69CBCA63
	v_add_u32_e32 v230, s99, v230                              // 00000000663C: 69CDCC63
	v_add_u32_e32 v231, s99, v231                              // 000000006640: 69CFCE63
	v_mfma_f32_16x16x16_f16 v[152:155], v[68:69], a[58:59], v[152:155]// 000000006644: D3CD0098 16627544
	s_mov_b32 m0, s78                                          // 00000000664C: BEFC004E
	v_add_u32_e32 v11, s69, v11                                // 000000006650: 68161645
	v_mfma_f32_16x16x16_f16 v[152:155], v[70:71], a[62:63], v[152:155]// 000000006654: D3CD0098 16627D46
	s_cmp_ge_u32 s59, s73                                      // 00000000665C: BF09493B
	s_cselect_b32 s66, s67, s66                                // 000000006660: 85424243
	v_mfma_f32_16x16x16_f16 v[152:155], v[72:73], a[66:67], v[152:155]// 000000006664: D3CD0098 16628548
	s_addk_i32 s59, 0x20                                       // 00000000666C: B73B0020
	s_nop 0                                                    // 000000006670: BF800000
	s_cmp_lt_i32 s59, s58                                      // 000000006674: BF043A3B
	v_mfma_f32_16x16x16_f16 v[152:155], v[74:75], a[70:71], v[152:155]// 000000006678: D3CD0098 16628D4A
	s_cbranch_scc0 label_0DF8                                  // 000000006680: BF8403C5
	s_waitcnt lgkmcnt(0)                                       // 000000006684: BF8CC07F
	s_barrier                                                  // 000000006688: BF8A0000
	v_mfma_f32_16x16x16_f16 v[52:55], a[96:97], a[0:1], 0      // 00000000668C: D3CD0034 1A020160
	ds_write_b32 v13, v44 offset:8704                          // 000000006694: D81A2200 00002C0D
	ds_write_b32 v13, v45 offset:9760                          // 00000000669C: D81A2620 00002D0D
	v_mfma_f32_16x16x16_f16 v[52:55], a[98:99], a[2:3], v[52:55]// 0000000066A4: D3CD0034 1CD20562
	v_mul_f32_e32 v148, s47, v148                              // 0000000066AC: 0B29282F
	v_mul_f32_e32 v149, s47, v149                              // 0000000066B0: 0B2B2A2F
	v_mfma_f32_16x16x16_f16 v[52:55], a[100:101], a[4:5], v[52:55]// 0000000066B4: D3CD0034 1CD20964
	ds_write_b32 v13, v46 offset:10880                         // 0000000066BC: D81A2A80 00002E0D
	ds_write_b32 v13, v47 offset:11936                         // 0000000066C4: D81A2EA0 00002F0D
	v_mfma_f32_16x16x16_f16 v[52:55], a[102:103], a[6:7], v[52:55]// 0000000066CC: D3CD0034 1CD20D66
	v_mul_f32_e32 v150, s47, v150                              // 0000000066D4: 0B2D2C2F
	v_mul_f32_e32 v151, s47, v151                              // 0000000066D8: 0B2F2E2F
	v_mfma_f32_16x16x16_f16 v[56:59], a[96:97], a[8:9], 0      // 0000000066DC: D3CD0038 1A021160
	ds_write_b64 v22, v[148:149] offset:31232                  // 0000000066E4: D89A7A00 00009416
	v_mfma_f32_16x16x16_f16 v[56:59], a[98:99], a[10:11], v[56:59]// 0000000066EC: D3CD0038 1CE21562
	v_mul_f32_e32 v152, s47, v152                              // 0000000066F4: 0B31302F
	v_mul_f32_e32 v153, s47, v153                              // 0000000066F8: 0B33322F
	v_mfma_f32_16x16x16_f16 v[56:59], a[100:101], a[12:13], v[56:59]// 0000000066FC: D3CD0038 1CE21964
	ds_write_b64 v22, v[150:151] offset:31744                  // 000000006704: D89A7C00 00009616
	v_mfma_f32_16x16x16_f16 v[56:59], a[102:103], a[14:15], v[56:59]// 00000000670C: D3CD0038 1CE21D66
	v_mul_f32_e32 v154, s47, v154                              // 000000006714: 0B35342F
	v_mul_f32_e32 v155, s47, v155                              // 000000006718: 0B37362F
	v_mfma_f32_16x16x16_f16 v[60:63], a[96:97], a[16:17], 0    // 00000000671C: D3CD003C 1A022160
	ds_write_b64 v22, v[152:153] offset:32256                  // 000000006724: D89A7E00 00009816
	v_mfma_f32_16x16x16_f16 v[60:63], a[98:99], a[18:19], v[60:63]// 00000000672C: D3CD003C 1CF22562
	buffer_atomic_add_f32 v160, v8, s[32:35], 0 idxen          // 000000006734: E1342000 8008A008
	v_mfma_f32_16x16x16_f16 v[60:63], a[100:101], a[20:21], v[60:63]// 00000000673C: D3CD003C 1CF22964
	ds_write_b64 v22, v[154:155] offset:32768                  // 000000006744: D89A8000 00009A16
	v_mfma_f32_16x16x16_f16 v[60:63], a[102:103], a[22:23], v[60:63]// 00000000674C: D3CD003C 1CF22D66
	v_mfma_f32_16x16x16_f16 v[64:67], a[104:105], a[0:1], 0    // 000000006754: D3CD0040 1A020168
	ds_read_b128 v[124:127], v14 offset:13056                  // 00000000675C: D9FE3300 7C00000E
	ds_write_b32 v13, v36                                      // 000000006764: D81A0000 0000240D
	v_mfma_f32_16x16x16_f16 v[64:67], a[106:107], a[2:3], v[64:67]// 00000000676C: D3CD0040 1D02056A
	buffer_atomic_add_f32 v161, v9, s[32:35], 0 idxen          // 000000006774: E1342000 8008A109
	v_mfma_f32_16x16x16_f16 v[64:67], a[108:109], a[4:5], v[64:67]// 00000000677C: D3CD0040 1D02096C
	v_mfma_f32_16x16x16_f16 v[64:67], a[110:111], a[6:7], v[64:67]// 000000006784: D3CD0040 1D020D6E
	ds_read_b128 v[128:131], v14 offset:13568                  // 00000000678C: D9FE3500 8000000E
	ds_write_b32 v13, v37 offset:1056                          // 000000006794: D81A0420 0000250D
	v_mfma_f32_16x16x16_f16 v[68:71], a[104:105], a[8:9], 0    // 00000000679C: D3CD0044 1A021168
	buffer_atomic_add_f32 v162, v8, s[32:35], 0 idxen offset:128// 0000000067A4: E1342080 8008A208
	v_mfma_f32_16x16x16_f16 v[68:71], a[106:107], a[10:11], v[68:71]// 0000000067AC: D3CD0044 1D12156A
	v_mfma_f32_16x16x16_f16 v[68:71], a[108:109], a[12:13], v[68:71]// 0000000067B4: D3CD0044 1D12196C
	ds_read_b128 v[132:135], v14 offset:15232                  // 0000000067BC: D9FE3B80 8400000E
	ds_write_b32 v13, v38 offset:2176                          // 0000000067C4: D81A0880 0000260D
	v_mfma_f32_16x16x16_f16 v[68:71], a[110:111], a[14:15], v[68:71]// 0000000067CC: D3CD0044 1D121D6E
	v_mfma_f32_16x16x16_f16 v[72:75], a[104:105], a[16:17], 0  // 0000000067D4: D3CD0048 1A022168
	buffer_atomic_add_f32 v163, v9, s[32:35], 0 idxen offset:128// 0000000067DC: E1342080 8008A309
	v_mfma_f32_16x16x16_f16 v[72:75], a[106:107], a[18:19], v[72:75]// 0000000067E4: D3CD0048 1D22256A
	ds_read_b128 v[136:139], v14 offset:15744                  // 0000000067EC: D9FE3D80 8800000E
	ds_write_b32 v13, v39 offset:3232                          // 0000000067F4: D81A0CA0 0000270D
	v_mfma_f32_16x16x16_f16 v[72:75], a[108:109], a[20:21], v[72:75]// 0000000067FC: D3CD0048 1D22296C
	v_mfma_f32_16x16x16_f16 v[72:75], a[110:111], a[22:23], v[72:75]// 000000006804: D3CD0048 1D222D6E
	s_cmp_eq_i32 s92, 0                                        // 00000000680C: BF00805C
	s_cbranch_scc1 label_0B87                                  // 000000006810: BF8500F0
	s_cmp_lt_i32 s74, 6                                        // 000000006814: BF04864A
	s_cbranch_scc0 label_0B0E                                  // 000000006818: BF84007E
	s_lshl_b32 s60, s74, 5                                     // 00000000681C: 8E3C854A
	s_lshl_b32 s61, 0, 4                                       // 000000006820: 8E3D8480
	s_add_i32 s60, s60, s61                                    // 000000006824: 813C3D3C
	v_sub_i32 v32, v232, s60                                   // 000000006828: D29D0020 000079E8
	s_mov_b32 s61, 0                                           // 000000006830: BEBD0080
	v_add_i32 v33, v32, s61                                    // 000000006834: D29C0021 00007B20
	v_cmp_gt_i32_e64 s[88:89], v33, 0                          // 00000000683C: D0C40058 00010121
	v_cmp_gt_i32_e64 s[90:91], v33, 1                          // 000000006844: D0C4005A 00010321
	v_cndmask_b32_e64 v52, v52, v178, s[88:89]                 // 00000000684C: D1000034 01636534
	v_cndmask_b32_e64 v53, v53, v178, s[90:91]                 // 000000006854: D1000035 016B6535
	v_cmp_gt_i32_e64 s[88:89], v33, 2                          // 00000000685C: D0C40058 00010521
	v_cmp_gt_i32_e64 s[90:91], v33, 3                          // 000000006864: D0C4005A 00010721
	v_cndmask_b32_e64 v54, v54, v178, s[88:89]                 // 00000000686C: D1000036 01636536
	v_cndmask_b32_e64 v55, v55, v178, s[90:91]                 // 000000006874: D1000037 016B6537
	s_mov_b32 s61, 64                                          // 00000000687C: BEBD00C0
	v_add_i32 v33, v32, s61                                    // 000000006880: D29C0021 00007B20
	v_cmp_gt_i32_e64 s[88:89], v33, 0                          // 000000006888: D0C40058 00010121
	v_cmp_gt_i32_e64 s[90:91], v33, 1                          // 000000006890: D0C4005A 00010321
	v_cndmask_b32_e64 v56, v56, v178, s[88:89]                 // 000000006898: D1000038 01636538
	v_cndmask_b32_e64 v57, v57, v178, s[90:91]                 // 0000000068A0: D1000039 016B6539
	v_cmp_gt_i32_e64 s[88:89], v33, 2                          // 0000000068A8: D0C40058 00010521
	v_cmp_gt_i32_e64 s[90:91], v33, 3                          // 0000000068B0: D0C4005A 00010721
	v_cndmask_b32_e64 v58, v58, v178, s[88:89]                 // 0000000068B8: D100003A 0163653A
	v_cndmask_b32_e64 v59, v59, v178, s[90:91]                 // 0000000068C0: D100003B 016B653B
	s_mov_b32 s61, 0x80                                        // 0000000068C8: BEBD00FF 00000080
	v_add_i32 v33, v32, s61                                    // 0000000068D0: D29C0021 00007B20
	v_cmp_gt_i32_e64 s[88:89], v33, 0                          // 0000000068D8: D0C40058 00010121
	v_cmp_gt_i32_e64 s[90:91], v33, 1                          // 0000000068E0: D0C4005A 00010321
	v_cndmask_b32_e64 v60, v60, v178, s[88:89]                 // 0000000068E8: D100003C 0163653C
	v_cndmask_b32_e64 v61, v61, v178, s[90:91]                 // 0000000068F0: D100003D 016B653D
	v_cmp_gt_i32_e64 s[88:89], v33, 2                          // 0000000068F8: D0C40058 00010521
	v_cmp_gt_i32_e64 s[90:91], v33, 3                          // 000000006900: D0C4005A 00010721
	v_cndmask_b32_e64 v62, v62, v178, s[88:89]                 // 000000006908: D100003E 0163653E
	v_cndmask_b32_e64 v63, v63, v178, s[90:91]                 // 000000006910: D100003F 016B653F
	s_lshl_b32 s60, s74, 5                                     // 000000006918: 8E3C854A
	s_lshl_b32 s61, 1, 4                                       // 00000000691C: 8E3D8481
	s_add_i32 s60, s60, s61                                    // 000000006920: 813C3D3C
	v_sub_i32 v32, v232, s60                                   // 000000006924: D29D0020 000079E8
	s_mov_b32 s61, 0                                           // 00000000692C: BEBD0080
	v_add_i32 v33, v32, s61                                    // 000000006930: D29C0021 00007B20
	v_cmp_gt_i32_e64 s[88:89], v33, 0                          // 000000006938: D0C40058 00010121
	v_cmp_gt_i32_e64 s[90:91], v33, 1                          // 000000006940: D0C4005A 00010321
	v_cndmask_b32_e64 v64, v64, v178, s[88:89]                 // 000000006948: D1000040 01636540
	v_cndmask_b32_e64 v65, v65, v178, s[90:91]                 // 000000006950: D1000041 016B6541
	v_cmp_gt_i32_e64 s[88:89], v33, 2                          // 000000006958: D0C40058 00010521
	v_cmp_gt_i32_e64 s[90:91], v33, 3                          // 000000006960: D0C4005A 00010721
	v_cndmask_b32_e64 v66, v66, v178, s[88:89]                 // 000000006968: D1000042 01636542
	v_cndmask_b32_e64 v67, v67, v178, s[90:91]                 // 000000006970: D1000043 016B6543
	s_mov_b32 s61, 64                                          // 000000006978: BEBD00C0
	v_add_i32 v33, v32, s61                                    // 00000000697C: D29C0021 00007B20
	v_cmp_gt_i32_e64 s[88:89], v33, 0                          // 000000006984: D0C40058 00010121
	v_cmp_gt_i32_e64 s[90:91], v33, 1                          // 00000000698C: D0C4005A 00010321
	v_cndmask_b32_e64 v68, v68, v178, s[88:89]                 // 000000006994: D1000044 01636544
	v_cndmask_b32_e64 v69, v69, v178, s[90:91]                 // 00000000699C: D1000045 016B6545
	v_cmp_gt_i32_e64 s[88:89], v33, 2                          // 0000000069A4: D0C40058 00010521
	v_cmp_gt_i32_e64 s[90:91], v33, 3                          // 0000000069AC: D0C4005A 00010721
	v_cndmask_b32_e64 v70, v70, v178, s[88:89]                 // 0000000069B4: D1000046 01636546
	v_cndmask_b32_e64 v71, v71, v178, s[90:91]                 // 0000000069BC: D1000047 016B6547
	s_mov_b32 s61, 0x80                                        // 0000000069C4: BEBD00FF 00000080
	v_add_i32 v33, v32, s61                                    // 0000000069CC: D29C0021 00007B20
	v_cmp_gt_i32_e64 s[88:89], v33, 0                          // 0000000069D4: D0C40058 00010121
	v_cmp_gt_i32_e64 s[90:91], v33, 1                          // 0000000069DC: D0C4005A 00010321
	v_cndmask_b32_e64 v72, v72, v178, s[88:89]                 // 0000000069E4: D1000048 01636548
	v_cndmask_b32_e64 v73, v73, v178, s[90:91]                 // 0000000069EC: D1000049 016B6549
	v_cmp_gt_i32_e64 s[88:89], v33, 2                          // 0000000069F4: D0C40058 00010521
	v_cmp_gt_i32_e64 s[90:91], v33, 3                          // 0000000069FC: D0C4005A 00010721
	v_cndmask_b32_e64 v74, v74, v178, s[88:89]                 // 000000006A04: D100004A 0163654A
	v_cndmask_b32_e64 v75, v75, v178, s[90:91]                 // 000000006A0C: D100004B 016B654B

0000000000006a14 <label_0B0E>:
	s_cmp_lt_i32 s101, 0xc0                                    // 000000006A14: BF04FF65 000000C0
	s_cbranch_scc0 label_0B87                                  // 000000006A1C: BF84006D
	s_cmp_le_i32 s101, 64                                      // 000000006A20: BF05C065
	s_cbranch_scc1 label_0B1A                                  // 000000006A24: BF850007
	s_cmp_le_i32 s101, 0x80                                    // 000000006A28: BF05FF65 00000080
	s_cbranch_scc1 label_0B3E                                  // 000000006A30: BF85001F
	s_cmp_lt_i32 s101, 0xc0                                    // 000000006A34: BF04FF65 000000C0
	s_cbranch_scc1 label_0B62                                  // 000000006A3C: BF850040
	s_branch label_0B87                                        // 000000006A40: BF820064

0000000000006a44 <label_0B1A>:
	s_mov_b32 s60, 0                                           // 000000006A44: BEBC0080
	v_and_b32_e32 v32, 15, v0                                  // 000000006A48: 2640008F
	v_add_u32_e64 v32, v32, s60                                // 000000006A4C: D1340020 00007920
	v_mul_i32_i24_e64 v33, s46, 16                             // 000000006A54: D1060021 0001202E
	v_add_u32_e32 v32, v32, v33                                // 000000006A5C: 68404320
	v_cmp_lt_u32_e64 s[60:61], v32, s101                       // 000000006A60: D0C9003C 0000CB20
	s_nop 1                                                    // 000000006A68: BF800001
	v_cndmask_b32_e64 v52, v178, v52, s[60:61]                 // 000000006A6C: D1000034 00F269B2
	v_cndmask_b32_e64 v64, v178, v64, s[60:61]                 // 000000006A74: D1000040 00F281B2
	v_cndmask_b32_e64 v53, v178, v53, s[60:61]                 // 000000006A7C: D1000035 00F26BB2
	v_cndmask_b32_e64 v65, v178, v65, s[60:61]                 // 000000006A84: D1000041 00F283B2
	v_cndmask_b32_e64 v54, v178, v54, s[60:61]                 // 000000006A8C: D1000036 00F26DB2
	v_cndmask_b32_e64 v66, v178, v66, s[60:61]                 // 000000006A94: D1000042 00F285B2
	v_cndmask_b32_e64 v55, v178, v55, s[60:61]                 // 000000006A9C: D1000037 00F26FB2
	v_cndmask_b32_e64 v67, v178, v67, s[60:61]                 // 000000006AA4: D1000043 00F287B2
	s_branch label_0B59                                        // 000000006AAC: BF82001B

0000000000006ab0 <label_0B3E>:
	s_mov_b32 s60, 64                                          // 000000006AB0: BEBC00C0
	v_and_b32_e32 v32, 15, v0                                  // 000000006AB4: 2640008F
	v_add_u32_e64 v32, v32, s60                                // 000000006AB8: D1340020 00007920
	v_mul_i32_i24_e64 v33, s46, 16                             // 000000006AC0: D1060021 0001202E
	v_add_u32_e32 v32, v32, v33                                // 000000006AC8: 68404320
	v_cmp_lt_u32_e64 s[60:61], v32, s101                       // 000000006ACC: D0C9003C 0000CB20
	s_nop 1                                                    // 000000006AD4: BF800001
	v_cndmask_b32_e64 v56, v178, v56, s[60:61]                 // 000000006AD8: D1000038 00F271B2
	v_cndmask_b32_e64 v68, v178, v68, s[60:61]                 // 000000006AE0: D1000044 00F289B2
	v_cndmask_b32_e64 v57, v178, v57, s[60:61]                 // 000000006AE8: D1000039 00F273B2
	v_cndmask_b32_e64 v69, v178, v69, s[60:61]                 // 000000006AF0: D1000045 00F28BB2
	v_cndmask_b32_e64 v58, v178, v58, s[60:61]                 // 000000006AF8: D100003A 00F275B2
	v_cndmask_b32_e64 v70, v178, v70, s[60:61]                 // 000000006B00: D1000046 00F28DB2
	v_cndmask_b32_e64 v59, v178, v59, s[60:61]                 // 000000006B08: D100003B 00F277B2
	v_cndmask_b32_e64 v71, v178, v71, s[60:61]                 // 000000006B10: D1000047 00F28FB2
	s_branch label_0B7E                                        // 000000006B18: BF820025

0000000000006b1c <label_0B59>:
	v_mov_b32_e32 v56, v178                                    // 000000006B1C: 7E7003B2
	v_mov_b32_e32 v68, v178                                    // 000000006B20: 7E8803B2
	v_mov_b32_e32 v57, v178                                    // 000000006B24: 7E7203B2
	v_mov_b32_e32 v69, v178                                    // 000000006B28: 7E8A03B2
	v_mov_b32_e32 v58, v178                                    // 000000006B2C: 7E7403B2
	v_mov_b32_e32 v70, v178                                    // 000000006B30: 7E8C03B2
	v_mov_b32_e32 v59, v178                                    // 000000006B34: 7E7603B2
	v_mov_b32_e32 v71, v178                                    // 000000006B38: 7E8E03B2
	s_branch label_0B7E                                        // 000000006B3C: BF82001C

0000000000006b40 <label_0B62>:
	s_mov_b32 s60, 0x80                                        // 000000006B40: BEBC00FF 00000080
	v_and_b32_e32 v32, 15, v0                                  // 000000006B48: 2640008F
	v_add_u32_e64 v32, v32, s60                                // 000000006B4C: D1340020 00007920
	v_mul_i32_i24_e64 v33, s46, 16                             // 000000006B54: D1060021 0001202E
	v_add_u32_e32 v32, v32, v33                                // 000000006B5C: 68404320
	v_cmp_lt_u32_e64 s[60:61], v32, s101                       // 000000006B60: D0C9003C 0000CB20
	s_nop 1                                                    // 000000006B68: BF800001
	v_cndmask_b32_e64 v60, v178, v60, s[60:61]                 // 000000006B6C: D100003C 00F279B2
	v_cndmask_b32_e64 v72, v178, v72, s[60:61]                 // 000000006B74: D1000048 00F291B2
	v_cndmask_b32_e64 v61, v178, v61, s[60:61]                 // 000000006B7C: D100003D 00F27BB2
	v_cndmask_b32_e64 v73, v178, v73, s[60:61]                 // 000000006B84: D1000049 00F293B2
	v_cndmask_b32_e64 v62, v178, v62, s[60:61]                 // 000000006B8C: D100003E 00F27DB2
	v_cndmask_b32_e64 v74, v178, v74, s[60:61]                 // 000000006B94: D100004A 00F295B2
	v_cndmask_b32_e64 v63, v178, v63, s[60:61]                 // 000000006B9C: D100003F 00F27FB2
	v_cndmask_b32_e64 v75, v178, v75, s[60:61]                 // 000000006BA4: D100004B 00F297B2
	s_branch label_0B87                                        // 000000006BAC: BF820009

0000000000006bb0 <label_0B7E>:
	v_mov_b32_e32 v60, v178                                    // 000000006BB0: 7E7803B2
	v_mov_b32_e32 v72, v178                                    // 000000006BB4: 7E9003B2
	v_mov_b32_e32 v61, v178                                    // 000000006BB8: 7E7A03B2
	v_mov_b32_e32 v73, v178                                    // 000000006BBC: 7E9203B2
	v_mov_b32_e32 v62, v178                                    // 000000006BC0: 7E7C03B2
	v_mov_b32_e32 v74, v178                                    // 000000006BC4: 7E9403B2
	v_mov_b32_e32 v63, v178                                    // 000000006BC8: 7E7E03B2
	v_mov_b32_e32 v75, v178                                    // 000000006BCC: 7E9603B2
	s_branch label_0B87                                        // 000000006BD0: BF820000

0000000000006bd4 <label_0B87>:
	s_addk_i32 s74, 0x1                                        // 000000006BD4: B74A0001
	s_waitcnt lgkmcnt(8)                                       // 000000006BD8: BF8CC87F
	s_barrier                                                  // 000000006BDC: BF8A0000
	v_mfma_f32_16x16x16_f16 v[76:79], v[108:109], a[72:73], 0  // 000000006BE0: D3CD004C 1202916C
	ds_read_b128 a[96:99], v14 offset:4352                     // 000000006BE8: DBFE1100 6000000E
	ds_read_b128 a[100:103], v14 offset:4864                   // 000000006BF0: DBFE1300 6400000E
	v_mfma_f32_16x16x16_f16 v[76:79], v[110:111], a[74:75], v[76:79]// 000000006BF8: D3CD004C 1532956E
	v_fma_f32 v52, v52, s57, -v140                             // 000000006C00: D1CB0034 86307334
	v_fma_f32 v53, v53, s57, -v141                             // 000000006C08: D1CB0035 86347335
	v_fma_f32 v54, v54, s57, -v142                             // 000000006C10: D1CB0036 86387336
	v_fma_f32 v55, v55, s57, -v143                             // 000000006C18: D1CB0037 863C7337
	v_fma_f32 v56, v56, s57, -v140                             // 000000006C20: D1CB0038 86307338
	v_fma_f32 v57, v57, s57, -v141                             // 000000006C28: D1CB0039 86347339
	v_mfma_f32_16x16x16_f16 v[76:79], v[112:113], a[76:77], v[76:79]// 000000006C30: D3CD004C 15329970
	v_fma_f32 v58, v58, s57, -v142                             // 000000006C38: D1CB003A 8638733A
	v_fma_f32 v59, v59, s57, -v143                             // 000000006C40: D1CB003B 863C733B
	v_fma_f32 v60, v60, s57, -v140                             // 000000006C48: D1CB003C 8630733C
	v_fma_f32 v61, v61, s57, -v141                             // 000000006C50: D1CB003D 8634733D
	v_fma_f32 v62, v62, s57, -v142                             // 000000006C58: D1CB003E 8638733E
	v_fma_f32 v63, v63, s57, -v143                             // 000000006C60: D1CB003F 863C733F
	v_mfma_f32_16x16x16_f16 v[76:79], v[114:115], a[78:79], v[76:79]// 000000006C68: D3CD004C 15329D72
	v_fma_f32 v64, v64, s57, -v144                             // 000000006C70: D1CB0040 86407340
	v_fma_f32 v65, v65, s57, -v145                             // 000000006C78: D1CB0041 86447341
	v_fma_f32 v66, v66, s57, -v146                             // 000000006C80: D1CB0042 86487342
	v_fma_f32 v67, v67, s57, -v147                             // 000000006C88: D1CB0043 864C7343
	v_fma_f32 v68, v68, s57, -v144                             // 000000006C90: D1CB0044 86407344
	v_fma_f32 v69, v69, s57, -v145                             // 000000006C98: D1CB0045 86447345
	v_mfma_f32_16x16x16_f16 v[80:83], v[108:109], a[80:81], 0  // 000000006CA0: D3CD0050 1202A16C
	ds_read_b128 a[104:107], v14 offset:6528                   // 000000006CA8: DBFE1980 6800000E
	ds_read_b128 a[108:111], v14 offset:7040                   // 000000006CB0: DBFE1B80 6C00000E
	v_mfma_f32_16x16x16_f16 v[80:83], v[110:111], a[82:83], v[80:83]// 000000006CB8: D3CD0050 1542A56E
	v_fma_f32 v70, v70, s57, -v146                             // 000000006CC0: D1CB0046 86487346
	v_fma_f32 v71, v71, s57, -v147                             // 000000006CC8: D1CB0047 864C7347
	v_fma_f32 v72, v72, s57, -v144                             // 000000006CD0: D1CB0048 86407348
	v_fma_f32 v73, v73, s57, -v145                             // 000000006CD8: D1CB0049 86447349
	v_fma_f32 v74, v74, s57, -v146                             // 000000006CE0: D1CB004A 8648734A
	v_fma_f32 v75, v75, s57, -v147                             // 000000006CE8: D1CB004B 864C734B
	v_mfma_f32_16x16x16_f16 v[80:83], v[112:113], a[84:85], v[80:83]// 000000006CF0: D3CD0050 1542A970
	v_exp_f32_e32 v52, v52                                     // 000000006CF8: 7E684134
	v_exp_f32_e32 v53, v53                                     // 000000006CFC: 7E6A4135
	v_mfma_f32_16x16x16_f16 v[80:83], v[114:115], a[86:87], v[80:83]// 000000006D00: D3CD0050 1542AD72
	v_exp_f32_e32 v54, v54                                     // 000000006D08: 7E6C4136
	v_exp_f32_e32 v55, v55                                     // 000000006D0C: 7E6E4137
	v_mfma_f32_16x16x16_f16 v[84:87], v[108:109], a[88:89], 0  // 000000006D10: D3CD0054 1202B16C
	ds_read_b64 v[156:157], v21 offset:31232                   // 000000006D18: D8EC7A00 9C000015
	ds_read_b64 v[158:159], v21 offset:33280                   // 000000006D20: D8EC8200 9E000015
	v_mfma_f32_16x16x16_f16 v[84:87], v[110:111], a[90:91], v[84:87]// 000000006D28: D3CD0054 1552B56E
	v_exp_f32_e32 v56, v56                                     // 000000006D30: 7E704138
	v_exp_f32_e32 v57, v57                                     // 000000006D34: 7E724139
	v_mfma_f32_16x16x16_f16 v[84:87], v[112:113], a[92:93], v[84:87]// 000000006D38: D3CD0054 1552B970
	ds_read_b64 v[160:161], v21 offset:35328                   // 000000006D40: D8EC8A00 A0000015
	ds_read_b64 v[162:163], v21 offset:37376                   // 000000006D48: D8EC9200 A2000015
	v_mfma_f32_16x16x16_f16 v[84:87], v[114:115], a[94:95], v[84:87]// 000000006D50: D3CD0054 1552BD72
	v_exp_f32_e32 v58, v58                                     // 000000006D58: 7E74413A
	v_exp_f32_e32 v59, v59                                     // 000000006D5C: 7E76413B
	v_mfma_f32_16x16x16_f16 v[88:91], v[116:117], a[72:73], 0  // 000000006D60: D3CD0058 12029174
	v_exp_f32_e32 v60, v60                                     // 000000006D68: 7E78413C
	v_exp_f32_e32 v61, v61                                     // 000000006D6C: 7E7A413D
	v_mfma_f32_16x16x16_f16 v[88:91], v[118:119], a[74:75], v[88:91]// 000000006D70: D3CD0058 15629576
	v_exp_f32_e32 v62, v62                                     // 000000006D78: 7E7C413E
	v_exp_f32_e32 v63, v63                                     // 000000006D7C: 7E7E413F
	v_mfma_f32_16x16x16_f16 v[88:91], v[120:121], a[76:77], v[88:91]// 000000006D80: D3CD0058 15629978
	v_exp_f32_e32 v64, v64                                     // 000000006D88: 7E804140
	v_exp_f32_e32 v65, v65                                     // 000000006D8C: 7E824141
	v_mfma_f32_16x16x16_f16 v[88:91], v[122:123], a[78:79], v[88:91]// 000000006D90: D3CD0058 15629D7A
	v_exp_f32_e32 v66, v66                                     // 000000006D98: 7E844142
	v_exp_f32_e32 v67, v67                                     // 000000006D9C: 7E864143
	v_mfma_f32_16x16x16_f16 v[92:95], v[116:117], a[80:81], 0  // 000000006DA0: D3CD005C 1202A174
	v_exp_f32_e32 v68, v68                                     // 000000006DA8: 7E884144
	v_exp_f32_e32 v69, v69                                     // 000000006DAC: 7E8A4145
	v_mfma_f32_16x16x16_f16 v[92:95], v[118:119], a[82:83], v[92:95]// 000000006DB0: D3CD005C 1572A576
	v_exp_f32_e32 v70, v70                                     // 000000006DB8: 7E8C4146
	v_exp_f32_e32 v71, v71                                     // 000000006DBC: 7E8E4147
	v_mfma_f32_16x16x16_f16 v[92:95], v[120:121], a[84:85], v[92:95]// 000000006DC0: D3CD005C 1572A978
	v_exp_f32_e32 v72, v72                                     // 000000006DC8: 7E904148
	v_exp_f32_e32 v73, v73                                     // 000000006DCC: 7E924149
	v_mfma_f32_16x16x16_f16 v[92:95], v[122:123], a[86:87], v[92:95]// 000000006DD0: D3CD005C 1572AD7A
	v_exp_f32_e32 v74, v74                                     // 000000006DD8: 7E94414A
	v_exp_f32_e32 v75, v75                                     // 000000006DDC: 7E96414B
	v_mfma_f32_16x16x16_f16 v[96:99], v[116:117], a[88:89], 0  // 000000006DE0: D3CD0060 1202B174
	v_cvt_pkrtz_f16_f32 v164, v52, v53                         // 000000006DE8: D29600A4 00026B34
	v_cvt_pkrtz_f16_f32 v165, v54, v55                         // 000000006DF0: D29600A5 00026F36
	v_cvt_pkrtz_f16_f32 v166, v56, v57                         // 000000006DF8: D29600A6 00027338
	v_cvt_pkrtz_f16_f32 v167, v58, v59                         // 000000006E00: D29600A7 0002773A
	v_cvt_pkrtz_f16_f32 v168, v60, v61                         // 000000006E08: D29600A8 00027B3C
	v_cvt_pkrtz_f16_f32 v169, v62, v63                         // 000000006E10: D29600A9 00027F3E
	v_mfma_f32_16x16x16_f16 v[96:99], v[118:119], a[90:91], v[96:99]// 000000006E18: D3CD0060 1582B576
	v_cvt_pkrtz_f16_f32 v170, v64, v65                         // 000000006E20: D29600AA 00028340
	v_cvt_pkrtz_f16_f32 v171, v66, v67                         // 000000006E28: D29600AB 00028742
	v_cvt_pkrtz_f16_f32 v172, v68, v69                         // 000000006E30: D29600AC 00028B44
	v_cvt_pkrtz_f16_f32 v173, v70, v71                         // 000000006E38: D29600AD 00028F46
	v_cvt_pkrtz_f16_f32 v174, v72, v73                         // 000000006E40: D29600AE 00029348
	v_cvt_pkrtz_f16_f32 v175, v74, v75                         // 000000006E48: D29600AF 0002974A
	v_mfma_f32_16x16x16_f16 v[96:99], v[120:121], a[92:93], v[96:99]// 000000006E50: D3CD0060 1582B978
	v_add_u32_e32 v6, s66, v6                                  // 000000006E58: 680C0C42
	v_add_u32_e32 v7, s66, v7                                  // 000000006E5C: 680E0E42
	v_add_u32_e32 v8, s66, v8                                  // 000000006E60: 68101042
	v_add_u32_e32 v9, s66, v9                                  // 000000006E64: 68121242
	v_mfma_f32_16x16x16_f16 v[96:99], v[122:123], a[94:95], v[96:99]// 000000006E68: D3CD0060 1582BD7A
	s_waitcnt lgkmcnt(0)                                       // 000000006E70: BF8CC07F
	s_barrier                                                  // 000000006E74: BF8A0000
	v_mfma_f32_16x16x16_f16 v[180:183], v[124:125], v[164:165], v[180:183]// 000000006E78: D3CD00B4 06D3497C
	v_subrev_f32_dpp v76, v176, v76 quad_perm:[0,0,0,0] row_mask:0xf bank_mask:0xf// 000000006E80: 069898FA FF0000B0
	v_subrev_f32_dpp v77, v176, v77 quad_perm:[1,1,1,1] row_mask:0xf bank_mask:0xf// 000000006E88: 069A9AFA FF0055B0
	v_subrev_f32_dpp v78, v176, v78 quad_perm:[2,2,2,2] row_mask:0xf bank_mask:0xf// 000000006E90: 069C9CFA FF00AAB0
	v_subrev_f32_dpp v79, v176, v79 quad_perm:[3,3,3,3] row_mask:0xf bank_mask:0xf// 000000006E98: 069E9EFA FF00FFB0
	v_subrev_f32_dpp v80, v176, v80 quad_perm:[0,0,0,0] row_mask:0xf bank_mask:0xf// 000000006EA0: 06A0A0FA FF0000B0
	v_subrev_f32_dpp v81, v176, v81 quad_perm:[1,1,1,1] row_mask:0xf bank_mask:0xf// 000000006EA8: 06A2A2FA FF0055B0
	v_mfma_f32_16x16x16_f16 v[184:187], v[126:127], v[164:165], v[184:187]// 000000006EB0: D3CD00B8 06E3497E
	v_subrev_f32_dpp v82, v176, v82 quad_perm:[2,2,2,2] row_mask:0xf bank_mask:0xf// 000000006EB8: 06A4A4FA FF00AAB0
	v_subrev_f32_dpp v83, v176, v83 quad_perm:[3,3,3,3] row_mask:0xf bank_mask:0xf// 000000006EC0: 06A6A6FA FF00FFB0
	v_subrev_f32_dpp v84, v176, v84 quad_perm:[0,0,0,0] row_mask:0xf bank_mask:0xf// 000000006EC8: 06A8A8FA FF0000B0
	v_subrev_f32_dpp v85, v176, v85 quad_perm:[1,1,1,1] row_mask:0xf bank_mask:0xf// 000000006ED0: 06AAAAFA FF0055B0
	v_subrev_f32_dpp v86, v176, v86 quad_perm:[2,2,2,2] row_mask:0xf bank_mask:0xf// 000000006ED8: 06ACACFA FF00AAB0
	v_subrev_f32_dpp v87, v176, v87 quad_perm:[3,3,3,3] row_mask:0xf bank_mask:0xf// 000000006EE0: 06AEAEFA FF00FFB0
	v_mfma_f32_16x16x16_f16 v[188:191], v[128:129], v[164:165], v[188:191]// 000000006EE8: D3CD00BC 06F34980
	v_mul_f32_e32 v76, v52, v76                                // 000000006EF0: 0A989934
	v_mul_f32_e32 v77, v53, v77                                // 000000006EF4: 0A9A9B35
	v_mul_f32_e32 v78, v54, v78                                // 000000006EF8: 0A9C9D36
	v_mul_f32_e32 v79, v55, v79                                // 000000006EFC: 0A9E9F37
	v_mul_f32_e32 v80, v56, v80                                // 000000006F00: 0AA0A138
	v_mul_f32_e32 v81, v57, v81                                // 000000006F04: 0AA2A339
	v_mfma_f32_16x16x16_f16 v[192:195], v[130:131], v[164:165], v[192:195]// 000000006F08: D3CD00C0 07034982
	v_mul_f32_e32 v82, v58, v82                                // 000000006F10: 0AA4A53A
	v_mul_f32_e32 v83, v59, v83                                // 000000006F14: 0AA6A73B
	v_mul_f32_e32 v84, v60, v84                                // 000000006F18: 0AA8A93C
	v_mul_f32_e32 v85, v61, v85                                // 000000006F1C: 0AAAAB3D
	v_mul_f32_e32 v86, v62, v86                                // 000000006F20: 0AACAD3E
	v_mul_f32_e32 v87, v63, v87                                // 000000006F24: 0AAEAF3F
	v_mfma_f32_16x16x16_f16 v[196:199], v[124:125], v[166:167], v[196:199]// 000000006F28: D3CD00C4 07134D7C
	v_cvt_pkrtz_f16_f32 v76, v76, v77                          // 000000006F30: D296004C 00029B4C
	v_cvt_pkrtz_f16_f32 v77, v78, v79                          // 000000006F38: D296004D 00029F4E
	v_cvt_pkrtz_f16_f32 v78, v80, v81                          // 000000006F40: D296004E 0002A350
	v_cvt_pkrtz_f16_f32 v79, v82, v83                          // 000000006F48: D296004F 0002A752
	v_cvt_pkrtz_f16_f32 v80, v84, v85                          // 000000006F50: D2960050 0002AB54
	v_cvt_pkrtz_f16_f32 v81, v86, v87                          // 000000006F58: D2960051 0002AF56
	v_mfma_f32_16x16x16_f16 v[200:203], v[126:127], v[166:167], v[200:203]// 000000006F60: D3CD00C8 07234D7E
	v_mov_b32_dpp v18, v76 quad_perm:[1,0,3,2] row_mask:0xf bank_mask:0xf// 000000006F68: 7E2402FA FF00B14C
	v_perm_b32 v52, v18, v76, v17                              // 000000006F70: D1ED0034 04469912
	v_mov_b32_dpp v18, v77 quad_perm:[1,0,3,2] row_mask:0xf bank_mask:0xf// 000000006F78: 7E2402FA FF00B14D
	v_perm_b32 v53, v18, v77, v17                              // 000000006F80: D1ED0035 04469B12
	v_mov_b32_dpp v18, v78 quad_perm:[1,0,3,2] row_mask:0xf bank_mask:0xf// 000000006F88: 7E2402FA FF00B14E
	v_perm_b32 v54, v18, v78, v17                              // 000000006F90: D1ED0036 04469D12
	v_mfma_f32_16x16x16_f16 v[204:207], v[128:129], v[166:167], v[204:207]// 000000006F98: D3CD00CC 07334D80
	v_mov_b32_dpp v18, v79 quad_perm:[1,0,3,2] row_mask:0xf bank_mask:0xf// 000000006FA0: 7E2402FA FF00B14F
	v_perm_b32 v55, v18, v79, v17                              // 000000006FA8: D1ED0037 04469F12
	v_mov_b32_dpp v18, v80 quad_perm:[1,0,3,2] row_mask:0xf bank_mask:0xf// 000000006FB0: 7E2402FA FF00B150
	v_perm_b32 v56, v18, v80, v17                              // 000000006FB8: D1ED0038 0446A112
	v_mov_b32_dpp v18, v81 quad_perm:[1,0,3,2] row_mask:0xf bank_mask:0xf// 000000006FC0: 7E2402FA FF00B151
	v_perm_b32 v57, v18, v81, v17                              // 000000006FC8: D1ED0039 0446A312
	v_mfma_f32_16x16x16_f16 v[208:211], v[130:131], v[166:167], v[208:211]// 000000006FD0: D3CD00D0 07434D82
	ds_write_b32 v20, v52 offset:17408                         // 000000006FD8: D81A4400 00003414
	ds_write_b32 v20, v53 offset:17952                         // 000000006FE0: D81A4620 00003514
	v_mfma_f32_16x16x16_f16 v[212:215], v[124:125], v[168:169], v[212:215]// 000000006FE8: D3CD00D4 0753517C
	v_subrev_f32_dpp v88, v177, v88 quad_perm:[0,0,0,0] row_mask:0xf bank_mask:0xf// 000000006FF0: 06B0B0FA FF0000B1
	v_subrev_f32_dpp v89, v177, v89 quad_perm:[1,1,1,1] row_mask:0xf bank_mask:0xf// 000000006FF8: 06B2B2FA FF0055B1
	v_subrev_f32_dpp v90, v177, v90 quad_perm:[2,2,2,2] row_mask:0xf bank_mask:0xf// 000000007000: 06B4B4FA FF00AAB1
	v_subrev_f32_dpp v91, v177, v91 quad_perm:[3,3,3,3] row_mask:0xf bank_mask:0xf// 000000007008: 06B6B6FA FF00FFB1
	v_subrev_f32_dpp v92, v177, v92 quad_perm:[0,0,0,0] row_mask:0xf bank_mask:0xf// 000000007010: 06B8B8FA FF0000B1
	v_subrev_f32_dpp v93, v177, v93 quad_perm:[1,1,1,1] row_mask:0xf bank_mask:0xf// 000000007018: 06BABAFA FF0055B1
	v_mfma_f32_16x16x16_f16 v[216:219], v[126:127], v[168:169], v[216:219]// 000000007020: D3CD00D8 0763517E
	ds_write_b32 v20, v54 offset:19712                         // 000000007028: D81A4D00 00003614
	ds_write_b32 v20, v55 offset:20256                         // 000000007030: D81A4F20 00003714
	v_mfma_f32_16x16x16_f16 v[220:223], v[128:129], v[168:169], v[220:223]// 000000007038: D3CD00DC 07735180
	v_subrev_f32_dpp v94, v177, v94 quad_perm:[2,2,2,2] row_mask:0xf bank_mask:0xf// 000000007040: 06BCBCFA FF00AAB1
	v_subrev_f32_dpp v95, v177, v95 quad_perm:[3,3,3,3] row_mask:0xf bank_mask:0xf// 000000007048: 06BEBEFA FF00FFB1
	v_subrev_f32_dpp v96, v177, v96 quad_perm:[0,0,0,0] row_mask:0xf bank_mask:0xf// 000000007050: 06C0C0FA FF0000B1
	v_subrev_f32_dpp v97, v177, v97 quad_perm:[1,1,1,1] row_mask:0xf bank_mask:0xf// 000000007058: 06C2C2FA FF0055B1
	v_subrev_f32_dpp v98, v177, v98 quad_perm:[2,2,2,2] row_mask:0xf bank_mask:0xf// 000000007060: 06C4C4FA FF00AAB1
	v_subrev_f32_dpp v99, v177, v99 quad_perm:[3,3,3,3] row_mask:0xf bank_mask:0xf// 000000007068: 06C6C6FA FF00FFB1
	v_mfma_f32_16x16x16_f16 v[224:227], v[130:131], v[168:169], v[224:227]// 000000007070: D3CD00E0 07835182
	ds_write_b32 v20, v56 offset:22016                         // 000000007078: D81A5600 00003814
	ds_write_b32 v20, v57 offset:22560                         // 000000007080: D81A5820 00003914
	v_mfma_f32_16x16x16_f16 v[180:183], v[132:133], v[170:171], v[180:183]// 000000007088: D3CD00B4 06D35584
	v_mul_f32_e32 v88, v64, v88                                // 000000007090: 0AB0B140
	v_mul_f32_e32 v89, v65, v89                                // 000000007094: 0AB2B341
	v_mul_f32_e32 v90, v66, v90                                // 000000007098: 0AB4B542
	v_mul_f32_e32 v91, v67, v91                                // 00000000709C: 0AB6B743
	v_mul_f32_e32 v92, v68, v92                                // 0000000070A0: 0AB8B944
	v_mul_f32_e32 v93, v69, v93                                // 0000000070A4: 0ABABB45
	v_mfma_f32_16x16x16_f16 v[184:187], v[134:135], v[170:171], v[184:187]// 0000000070A8: D3CD00B8 06E35586
	v_mul_f32_e32 v94, v70, v94                                // 0000000070B0: 0ABCBD46
	v_mul_f32_e32 v95, v71, v95                                // 0000000070B4: 0ABEBF47
	v_mul_f32_e32 v96, v72, v96                                // 0000000070B8: 0AC0C148
	v_mul_f32_e32 v97, v73, v97                                // 0000000070BC: 0AC2C349
	v_mul_f32_e32 v98, v74, v98                                // 0000000070C0: 0AC4C54A
	v_mul_f32_e32 v99, v75, v99                                // 0000000070C4: 0AC6C74B
	v_mfma_f32_16x16x16_f16 v[188:191], v[136:137], v[170:171], v[188:191]// 0000000070C8: D3CD00BC 06F35588
	v_cvt_pkrtz_f16_f32 v82, v88, v89                          // 0000000070D0: D2960052 0002B358
	v_cvt_pkrtz_f16_f32 v83, v90, v91                          // 0000000070D8: D2960053 0002B75A
	v_cvt_pkrtz_f16_f32 v84, v92, v93                          // 0000000070E0: D2960054 0002BB5C
	v_cvt_pkrtz_f16_f32 v85, v94, v95                          // 0000000070E8: D2960055 0002BF5E
	v_cvt_pkrtz_f16_f32 v86, v96, v97                          // 0000000070F0: D2960056 0002C360
	v_cvt_pkrtz_f16_f32 v87, v98, v99                          // 0000000070F8: D2960057 0002C762
	v_mfma_f32_16x16x16_f16 v[192:195], v[138:139], v[170:171], v[192:195]// 000000007100: D3CD00C0 0703558A
	v_mov_b32_dpp v18, v82 quad_perm:[1,0,3,2] row_mask:0xf bank_mask:0xf// 000000007108: 7E2402FA FF00B152
	v_perm_b32 v58, v18, v82, v17                              // 000000007110: D1ED003A 0446A512
	v_mov_b32_dpp v18, v83 quad_perm:[1,0,3,2] row_mask:0xf bank_mask:0xf// 000000007118: 7E2402FA FF00B153
	v_perm_b32 v59, v18, v83, v17                              // 000000007120: D1ED003B 0446A712
	v_mov_b32_dpp v18, v84 quad_perm:[1,0,3,2] row_mask:0xf bank_mask:0xf// 000000007128: 7E2402FA FF00B154
	v_perm_b32 v60, v18, v84, v17                              // 000000007130: D1ED003C 0446A912
	v_mfma_f32_16x16x16_f16 v[196:199], v[132:133], v[172:173], v[196:199]// 000000007138: D3CD00C4 07135984
	v_mov_b32_dpp v18, v85 quad_perm:[1,0,3,2] row_mask:0xf bank_mask:0xf// 000000007140: 7E2402FA FF00B155
	v_perm_b32 v61, v18, v85, v17                              // 000000007148: D1ED003D 0446AB12
	v_mov_b32_dpp v18, v86 quad_perm:[1,0,3,2] row_mask:0xf bank_mask:0xf// 000000007150: 7E2402FA FF00B156
	v_perm_b32 v62, v18, v86, v17                              // 000000007158: D1ED003E 0446AD12
	v_mov_b32_dpp v18, v87 quad_perm:[1,0,3,2] row_mask:0xf bank_mask:0xf// 000000007160: 7E2402FA FF00B157
	v_perm_b32 v63, v18, v87, v17                              // 000000007168: D1ED003F 0446AF12
	v_mfma_f32_16x16x16_f16 v[200:203], v[134:135], v[172:173], v[200:203]// 000000007170: D3CD00C8 07235986
	ds_write_b32 v20, v58 offset:24320                         // 000000007178: D81A5F00 00003A14
	ds_write_b32 v20, v59 offset:24864                         // 000000007180: D81A6120 00003B14
	v_mfma_f32_16x16x16_f16 v[204:207], v[136:137], v[172:173], v[204:207]// 000000007188: D3CD00CC 07335988
	v_mfma_f32_16x16x16_f16 v[208:211], v[138:139], v[172:173], v[208:211]// 000000007190: D3CD00D0 0743598A
	ds_write_b32 v20, v60 offset:26624                         // 000000007198: D81A6800 00003C14
	ds_write_b32 v20, v61 offset:27168                         // 0000000071A0: D81A6A20 00003D14
	ds_write_b32 v20, v62 offset:28928                         // 0000000071A8: D81A7100 00003E14
	ds_write_b32 v20, v63 offset:29472                         // 0000000071B0: D81A7320 00003F14
	v_mfma_f32_16x16x16_f16 v[212:215], v[132:133], v[174:175], v[212:215]// 0000000071B8: D3CD00D4 07535D84
	v_mfma_f32_16x16x16_f16 v[216:219], v[134:135], v[174:175], v[216:219]// 0000000071C0: D3CD00D8 07635D86
	ds_write_b32 v15, v100 offset:4352                         // 0000000071C8: D81A1100 0000640F
	ds_write_b32 v15, v101 offset:5408                         // 0000000071D0: D81A1520 0000650F
	v_mfma_f32_16x16x16_f16 v[220:223], v[136:137], v[174:175], v[220:223]// 0000000071D8: D3CD00DC 07735D88
	s_nop 0                                                    // 0000000071E0: BF800000
	s_nop 0                                                    // 0000000071E4: BF800000
	s_nop 0                                                    // 0000000071E8: BF800000
	v_mfma_f32_16x16x16_f16 v[224:227], v[138:139], v[174:175], v[224:227]// 0000000071EC: D3CD00E0 07835D8A
	ds_write_b32 v15, v102 offset:6528                         // 0000000071F4: D81A1980 0000660F
	ds_write_b32 v15, v103 offset:7584                         // 0000000071FC: D81A1DA0 0000670F
	s_barrier                                                  // 000000007204: BF8A0000
	v_mfma_f32_16x16x16_f16 a[112:115], a[96:97], v[76:77], a[112:115]// 000000007208: D3CD8070 0DC29960
	buffer_atomic_add_f32 v156, v6, s[32:35], 0 idxen          // 000000007210: E1342000 80089C06
	v_mfma_f32_16x16x16_f16 a[116:119], a[98:99], v[76:77], a[116:119]// 000000007218: D3CD8074 0DD29962
	ds_read_b32 v140, v23 offset:39424                         // 000000007220: D86C9A00 8C000017
	ds_read_b32 v144, v23 offset:39488                         // 000000007228: D86C9A40 90000017
	ds_read_b32 v176, v23 offset:39680                         // 000000007230: D86C9B00 B0000017
	ds_read_b32 v177, v23 offset:39744                         // 000000007238: D86C9B40 B1000017
	v_mfma_f32_16x16x16_f16 a[120:123], a[100:101], v[76:77], a[120:123]// 000000007240: D3CD8078 0DE29964
	s_waitcnt lgkmcnt(8)                                       // 000000007248: BF8CC87F
	s_barrier                                                  // 00000000724C: BF8A0000
	v_mfma_f32_16x16x16_f16 a[124:127], a[102:103], v[76:77], a[124:127]// 000000007250: D3CD807C 0DF29966
	ds_read_b128 v[52:55], v19 offset:17408                    // 000000007258: D9FE4400 34000013
	v_mfma_f32_16x16x16_f16 a[128:131], a[96:97], v[78:79], a[128:131]// 000000007260: D3CD8080 0E029D60
	v_mfma_f32_16x16x16_f16 a[132:135], a[98:99], v[78:79], a[132:135]// 000000007268: D3CD8084 0E129D62
	ds_read_b128 v[56:59], v19 offset:18560                    // 000000007270: D9FE4880 38000013
	v_mfma_f32_16x16x16_f16 a[136:139], a[100:101], v[78:79], a[136:139]// 000000007278: D3CD8088 0E229D64
	buffer_atomic_add_f32 v157, v7, s[32:35], 0 idxen          // 000000007280: E1342000 80089D07
	v_mfma_f32_16x16x16_f16 a[140:143], a[102:103], v[78:79], a[140:143]// 000000007288: D3CD808C 0E329D66
	ds_read_b128 v[60:63], v19 offset:19712                    // 000000007290: D9FE4D00 3C000013
	v_mfma_f32_16x16x16_f16 a[144:147], a[96:97], v[80:81], a[144:147]// 000000007298: D3CD8090 0E42A160
	v_mfma_f32_16x16x16_f16 a[148:151], a[98:99], v[80:81], a[148:151]// 0000000072A0: D3CD8094 0E52A162
	ds_read_b128 v[64:67], v19 offset:20864                    // 0000000072A8: D9FE5180 40000013
	v_mfma_f32_16x16x16_f16 a[152:155], a[100:101], v[80:81], a[152:155]// 0000000072B0: D3CD8098 0E62A164
	v_mfma_f32_16x16x16_f16 a[156:159], a[102:103], v[80:81], a[156:159]// 0000000072B8: D3CD809C 0E72A166
	ds_read_b128 v[68:71], v19 offset:22016                    // 0000000072C0: D9FE5600 44000013
	v_mfma_f32_16x16x16_f16 a[112:115], a[104:105], v[82:83], a[112:115]// 0000000072C8: D3CD8070 0DC2A568
	buffer_atomic_add_f32 v158, v6, s[32:35], 0 idxen offset:128// 0000000072D0: E1342080 80089E06
	v_mfma_f32_16x16x16_f16 a[116:119], a[106:107], v[82:83], a[116:119]// 0000000072D8: D3CD8074 0DD2A56A
	ds_read_b128 v[72:75], v19 offset:23168                    // 0000000072E0: D9FE5A80 48000013
	v_mfma_f32_16x16x16_f16 a[120:123], a[108:109], v[82:83], a[120:123]// 0000000072E8: D3CD8078 0DE2A56C
	v_mfma_f32_16x16x16_f16 a[124:127], a[110:111], v[82:83], a[124:127]// 0000000072F0: D3CD807C 0DF2A56E
	ds_write_b32 v15, v104 offset:13056                        // 0000000072F8: D81A3300 0000680F
	v_mfma_f32_16x16x16_f16 a[128:131], a[104:105], v[84:85], a[128:131]// 000000007300: D3CD8080 0E02A968
	v_mfma_f32_16x16x16_f16 a[132:135], a[106:107], v[84:85], a[132:135]// 000000007308: D3CD8084 0E12A96A
	ds_write_b32 v15, v105 offset:14112                        // 000000007310: D81A3720 0000690F
	v_mfma_f32_16x16x16_f16 a[136:139], a[108:109], v[84:85], a[136:139]// 000000007318: D3CD8088 0E22A96C
	buffer_atomic_add_f32 v159, v7, s[32:35], 0 idxen offset:128// 000000007320: E1342080 80089F07
	v_mfma_f32_16x16x16_f16 a[140:143], a[110:111], v[84:85], a[140:143]// 000000007328: D3CD808C 0E32A96E
	ds_write_b32 v15, v106 offset:15232                        // 000000007330: D81A3B80 00006A0F
	v_mfma_f32_16x16x16_f16 a[144:147], a[104:105], v[86:87], a[144:147]// 000000007338: D3CD8090 0E42AD68
	v_mfma_f32_16x16x16_f16 a[148:151], a[106:107], v[86:87], a[148:151]// 000000007340: D3CD8094 0E52AD6A
	ds_write_b32 v15, v107 offset:16288                        // 000000007348: D81A3FA0 00006B0F
	v_mfma_f32_16x16x16_f16 a[152:155], a[108:109], v[86:87], a[152:155]// 000000007350: D3CD8098 0E62AD6C
	v_mfma_f32_16x16x16_f16 a[156:159], a[110:111], v[86:87], a[156:159]// 000000007358: D3CD809C 0E72AD6E
	s_waitcnt vmcnt(8) lgkmcnt(4)                              // 000000007360: BF8C0478
	s_barrier                                                  // 000000007364: BF8A0000
	v_mfma_f32_16x16x16_f16 v[148:151], v[52:53], a[24:25], 0  // 000000007368: D3CD0094 12023134
	v_mul_f32_e32 v140, s48, v140                              // 000000007370: 0B191830
	v_mul_f32_e32 v144, s48, v144                              // 000000007374: 0B212030
	s_nop 0                                                    // 000000007378: BF800000
	v_mfma_f32_16x16x16_f16 v[148:151], v[54:55], a[28:29], v[148:151]// 00000000737C: D3CD0094 16523936
	ds_read_b128 a[96:99], v12                                 // 000000007384: DBFE0000 6000000C
	buffer_load_dword v36, v1, s[8:11], 0 idxen                // 00000000738C: E0502000 80022401
	v_mfma_f32_16x16x16_f16 v[148:151], v[56:57], a[32:33], v[148:151]// 000000007394: D3CD0094 16524138
	v_mfma_f32_16x16x16_f16 v[148:151], v[58:59], a[36:37], v[148:151]// 00000000739C: D3CD0094 1652493A
	ds_read_b128 a[100:103], v12 offset:512                    // 0000000073A4: DBFE0200 6400000C
	buffer_load_dword v37, v2, s[8:11], 0 idxen                // 0000000073AC: E0502000 80022502
	v_mfma_f32_16x16x16_f16 v[148:151], v[60:61], a[40:41], v[148:151]// 0000000073B4: D3CD0094 1652513C
	v_perm_b32 v100, v41, v40, s63                             // 0000000073BC: D1ED0064 00FE5129
	v_perm_b32 v101, v41, v40, s64                             // 0000000073C4: D1ED0065 01025129
	v_mfma_f32_16x16x16_f16 v[148:151], v[62:63], a[44:45], v[148:151]// 0000000073CC: D3CD0094 1652593E
	ds_read_b128 a[104:107], v12 offset:2176                   // 0000000073D4: DBFE0880 6800000C
	buffer_load_dword v38, v3, s[8:11], 0 idxen                // 0000000073DC: E0502000 80022603
	v_mfma_f32_16x16x16_f16 v[148:151], v[64:65], a[48:49], v[148:151]// 0000000073E4: D3CD0094 16526140
	v_perm_b32 v102, v43, v42, s63                             // 0000000073EC: D1ED0066 00FE552B
	v_perm_b32 v103, v43, v42, s64                             // 0000000073F4: D1ED0067 0102552B
	v_mfma_f32_16x16x16_f16 v[148:151], v[66:67], a[52:53], v[148:151]// 0000000073FC: D3CD0094 16526942
	ds_read_b128 a[108:111], v12 offset:2688                   // 000000007404: DBFE0A80 6C00000C
	buffer_load_dword v39, v4, s[8:11], 0 idxen                // 00000000740C: E0502000 80022704
	v_mfma_f32_16x16x16_f16 v[148:151], v[68:69], a[56:57], v[148:151]// 000000007414: D3CD0094 16527144
	v_perm_b32 v104, v49, v48, s63                             // 00000000741C: D1ED0068 00FE6131
	v_perm_b32 v105, v49, v48, s64                             // 000000007424: D1ED0069 01026131
	v_mfma_f32_16x16x16_f16 v[148:151], v[70:71], a[60:61], v[148:151]// 00000000742C: D3CD0094 16527946
	ds_read_b128 v[108:111], v12 offset:8704                   // 000000007434: D9FE2200 6C00000C
	buffer_load_dword v44, v228, s[20:23], 0 idxen             // 00000000743C: E0502000 80052CE4
	v_mfma_f32_16x16x16_f16 v[148:151], v[72:73], a[64:65], v[148:151]// 000000007444: D3CD0094 16528148
	v_perm_b32 v106, v51, v50, s63                             // 00000000744C: D1ED006A 00FE6533
	v_perm_b32 v107, v51, v50, s64                             // 000000007454: D1ED006B 01026533
	v_mfma_f32_16x16x16_f16 v[148:151], v[74:75], a[68:69], v[148:151]// 00000000745C: D3CD0094 1652894A
	ds_read_b128 v[112:115], v12 offset:9216                   // 000000007464: D9FE2400 7000000C
	buffer_load_dword v45, v229, s[20:23], 0 idxen             // 00000000746C: E0502000 80052DE5
	v_mfma_f32_16x16x16_f16 v[152:155], v[52:53], a[26:27], 0  // 000000007474: D3CD0098 12023534
	v_mov_b32_dpp v143, v140 quad_perm:[3,3,3,3] row_mask:0xf bank_mask:0xf// 00000000747C: 7F1E02FA FF00FF8C
	v_mov_b32_dpp v142, v140 quad_perm:[2,2,2,2] row_mask:0xf bank_mask:0xf// 000000007484: 7F1C02FA FF00AA8C
	v_mov_b32_dpp v141, v140 quad_perm:[1,1,1,1] row_mask:0xf bank_mask:0xf// 00000000748C: 7F1A02FA FF00558C
	v_mov_b32_dpp v140, v140 quad_perm:[0,0,0,0] row_mask:0xf bank_mask:0xf// 000000007494: 7F1802FA FF00008C
	v_mfma_f32_16x16x16_f16 v[152:155], v[54:55], a[30:31], v[152:155]// 00000000749C: D3CD0098 16623D36
	ds_read_b128 v[116:119], v12 offset:10880                  // 0000000074A4: D9FE2A80 7400000C
	buffer_load_dword v46, v230, s[20:23], 0 idxen             // 0000000074AC: E0502000 80052EE6
	v_mfma_f32_16x16x16_f16 v[152:155], v[56:57], a[34:35], v[152:155]// 0000000074B4: D3CD0098 16624538
	v_mov_b32_dpp v147, v144 quad_perm:[3,3,3,3] row_mask:0xf bank_mask:0xf// 0000000074BC: 7F2602FA FF00FF90
	v_mov_b32_dpp v146, v144 quad_perm:[2,2,2,2] row_mask:0xf bank_mask:0xf// 0000000074C4: 7F2402FA FF00AA90
	v_mov_b32_dpp v145, v144 quad_perm:[1,1,1,1] row_mask:0xf bank_mask:0xf// 0000000074CC: 7F2202FA FF005590
	v_mov_b32_dpp v144, v144 quad_perm:[0,0,0,0] row_mask:0xf bank_mask:0xf// 0000000074D4: 7F2002FA FF000090
	s_add_u32 s60, 0x80, s59                                   // 0000000074DC: 803C3BFF 00000080
	v_mfma_f32_16x16x16_f16 v[152:155], v[58:59], a[38:39], v[152:155]// 0000000074E4: D3CD0098 16624D3A
	ds_read_b128 v[120:123], v12 offset:11392                  // 0000000074EC: D9FE2C80 7800000C
	buffer_load_dword v47, v231, s[20:23], 0 idxen             // 0000000074F4: E0502000 80052FE7
	v_mfma_f32_16x16x16_f16 v[152:155], v[60:61], a[42:43], v[152:155]// 0000000074FC: D3CD0098 1662553C
	s_cmp_lt_u32 s60, s58                                      // 000000007504: BF0A3A3C
	s_cselect_b32 s68, s68, 0                                  // 000000007508: 85448044
	s_cselect_b32 s99, s99, 0                                  // 00000000750C: 85638063
	s_cselect_b32 s69, s69, 0                                  // 000000007510: 85458045
	v_mfma_f32_16x16x16_f16 v[152:155], v[62:63], a[46:47], v[152:155]// 000000007514: D3CD0098 16625D3E
	buffer_load_dword v11, s[24:27], 0 idxen lds               // 00000000751C: E0512000 8006000B
	v_mfma_f32_16x16x16_f16 v[152:155], v[64:65], a[50:51], v[152:155]// 000000007524: D3CD0098 16626540
	v_add_u32_e32 v1, s68, v1                                  // 00000000752C: 68020244
	v_add_u32_e32 v2, s68, v2                                  // 000000007530: 68040444
	v_add_u32_e32 v3, s68, v3                                  // 000000007534: 68060644
	;; [unrolled: 1-line block ×3, first 2 shown]
	v_mfma_f32_16x16x16_f16 v[152:155], v[66:67], a[54:55], v[152:155]// 00000000753C: D3CD0098 16626D42
	v_add_u32_e32 v228, s99, v228                              // 000000007544: 69C9C863
	v_add_u32_e32 v229, s99, v229                              // 000000007548: 69CBCA63
	v_add_u32_e32 v230, s99, v230                              // 00000000754C: 69CDCC63
	v_add_u32_e32 v231, s99, v231                              // 000000007550: 69CFCE63
	v_mfma_f32_16x16x16_f16 v[152:155], v[68:69], a[58:59], v[152:155]// 000000007554: D3CD0098 16627544
	s_mov_b32 m0, s79                                          // 00000000755C: BEFC004F
	v_add_u32_e32 v11, s69, v11                                // 000000007560: 68161645
	v_mfma_f32_16x16x16_f16 v[152:155], v[70:71], a[62:63], v[152:155]// 000000007564: D3CD0098 16627D46
	s_cmp_ge_u32 s59, s73                                      // 00000000756C: BF09493B
	s_cselect_b32 s66, s67, s66                                // 000000007570: 85424243
	v_mfma_f32_16x16x16_f16 v[152:155], v[72:73], a[66:67], v[152:155]// 000000007574: D3CD0098 16628548
	s_addk_i32 s59, 0x20                                       // 00000000757C: B73B0020
	s_nop 0                                                    // 000000007580: BF800000
	s_cmp_lt_i32 s59, s58                                      // 000000007584: BF043A3B
	v_mfma_f32_16x16x16_f16 v[152:155], v[74:75], a[70:71], v[152:155]// 000000007588: D3CD0098 16628D4A
	s_cbranch_scc0 label_0DF8                                  // 000000007590: BF840001
	s_branch label_065D                                        // 000000007594: BF82F877

0000000000007598 <label_0DF8>:
	s_nop 0                                                    // 000000007598: BF800000
	s_nop 0                                                    // 00000000759C: BF800000
	s_branch label_1596                                        // 0000000075A0: BF820789

00000000000075a4 <label_0DFB>:
	s_waitcnt lgkmcnt(0)                                       // 0000000075A4: BF8CC07F
	s_barrier                                                  // 0000000075A8: BF8A0000
	v_mfma_f32_16x16x16_f16 v[52:55], a[96:97], a[0:1], 0      // 0000000075AC: D3CD0034 1A020160
	v_mul_f32_e32 v148, s47, v148                              // 0000000075B4: 0B29282F
	v_mul_f32_e32 v149, s47, v149                              // 0000000075B8: 0B2B2A2F
	v_mfma_f32_16x16x16_f16 v[52:55], a[98:99], a[2:3], v[52:55]// 0000000075BC: D3CD0034 1CD20562
	ds_write_b32 v13, v48 offset:8704                          // 0000000075C4: D81A2200 0000300D
	ds_write_b32 v13, v49 offset:9760                          // 0000000075CC: D81A2620 0000310D
	v_mfma_f32_16x16x16_f16 v[52:55], a[100:101], a[4:5], v[52:55]// 0000000075D4: D3CD0034 1CD20964
	v_mul_f32_e32 v150, s47, v150                              // 0000000075DC: 0B2D2C2F
	v_mul_f32_e32 v151, s47, v151                              // 0000000075E0: 0B2F2E2F
	v_mfma_f32_16x16x16_f16 v[52:55], a[102:103], a[6:7], v[52:55]// 0000000075E4: D3CD0034 1CD20D66
	ds_write_b32 v13, v50 offset:10880                         // 0000000075EC: D81A2A80 0000320D
	ds_write_b32 v13, v51 offset:11936                         // 0000000075F4: D81A2EA0 0000330D
	v_mfma_f32_16x16x16_f16 v[56:59], a[96:97], a[8:9], 0      // 0000000075FC: D3CD0038 1A021160
	v_mul_f32_e32 v152, s47, v152                              // 000000007604: 0B31302F
	v_mul_f32_e32 v153, s47, v153                              // 000000007608: 0B33322F
	v_mfma_f32_16x16x16_f16 v[56:59], a[98:99], a[10:11], v[56:59]// 00000000760C: D3CD0038 1CE21562
	ds_write_b64 v22, v[148:149] offset:31232                  // 000000007614: D89A7A00 00009416
	v_mfma_f32_16x16x16_f16 v[56:59], a[100:101], a[12:13], v[56:59]// 00000000761C: D3CD0038 1CE21964
	v_mul_f32_e32 v154, s47, v154                              // 000000007624: 0B35342F
	v_mul_f32_e32 v155, s47, v155                              // 000000007628: 0B37362F
	v_mfma_f32_16x16x16_f16 v[56:59], a[102:103], a[14:15], v[56:59]// 00000000762C: D3CD0038 1CE21D66
	ds_write_b64 v22, v[150:151] offset:31744                  // 000000007634: D89A7C00 00009616
	v_mfma_f32_16x16x16_f16 v[60:63], a[96:97], a[16:17], 0    // 00000000763C: D3CD003C 1A022160
	buffer_atomic_add_f32 v160, v8, s[32:35], 0 idxen          // 000000007644: E1342000 8008A008
	v_mfma_f32_16x16x16_f16 v[60:63], a[98:99], a[18:19], v[60:63]// 00000000764C: D3CD003C 1CF22562
	ds_write_b64 v22, v[152:153] offset:32256                  // 000000007654: D89A7E00 00009816
	v_mfma_f32_16x16x16_f16 v[60:63], a[100:101], a[20:21], v[60:63]// 00000000765C: D3CD003C 1CF22964
	v_mfma_f32_16x16x16_f16 v[60:63], a[102:103], a[22:23], v[60:63]// 000000007664: D3CD003C 1CF22D66
	ds_write_b64 v22, v[154:155] offset:32768                  // 00000000766C: D89A8000 00009A16
	v_mfma_f32_16x16x16_f16 v[64:67], a[104:105], a[0:1], 0    // 000000007674: D3CD0040 1A020168
	buffer_atomic_add_f32 v161, v9, s[32:35], 0 idxen          // 00000000767C: E1342000 8008A109
	v_mfma_f32_16x16x16_f16 v[64:67], a[106:107], a[2:3], v[64:67]// 000000007684: D3CD0040 1D02056A
	ds_read_b128 v[124:127], v14 offset:13056                  // 00000000768C: D9FE3300 7C00000E
	ds_write_b32 v13, v40                                      // 000000007694: D81A0000 0000280D
	v_mfma_f32_16x16x16_f16 v[64:67], a[108:109], a[4:5], v[64:67]// 00000000769C: D3CD0040 1D02096C
	v_mfma_f32_16x16x16_f16 v[64:67], a[110:111], a[6:7], v[64:67]// 0000000076A4: D3CD0040 1D020D6E
	v_mfma_f32_16x16x16_f16 v[68:71], a[104:105], a[8:9], 0    // 0000000076AC: D3CD0044 1A021168
	ds_read_b128 v[128:131], v14 offset:13568                  // 0000000076B4: D9FE3500 8000000E
	ds_write_b32 v13, v41 offset:1056                          // 0000000076BC: D81A0420 0000290D
	v_mfma_f32_16x16x16_f16 v[68:71], a[106:107], a[10:11], v[68:71]// 0000000076C4: D3CD0044 1D12156A
	buffer_atomic_add_f32 v162, v8, s[32:35], 0 idxen offset:128// 0000000076CC: E1342080 8008A208
	v_mfma_f32_16x16x16_f16 v[68:71], a[108:109], a[12:13], v[68:71]// 0000000076D4: D3CD0044 1D12196C
	v_mfma_f32_16x16x16_f16 v[68:71], a[110:111], a[14:15], v[68:71]// 0000000076DC: D3CD0044 1D121D6E
	ds_read_b128 v[132:135], v14 offset:15232                  // 0000000076E4: D9FE3B80 8400000E
	ds_write_b32 v13, v42 offset:2176                          // 0000000076EC: D81A0880 00002A0D
	v_mfma_f32_16x16x16_f16 v[72:75], a[104:105], a[16:17], 0  // 0000000076F4: D3CD0048 1A022168
	v_mfma_f32_16x16x16_f16 v[72:75], a[106:107], a[18:19], v[72:75]// 0000000076FC: D3CD0048 1D22256A
	buffer_atomic_add_f32 v163, v9, s[32:35], 0 idxen offset:128// 000000007704: E1342080 8008A309
	v_mfma_f32_16x16x16_f16 v[72:75], a[108:109], a[20:21], v[72:75]// 00000000770C: D3CD0048 1D22296C
	ds_read_b128 v[136:139], v14 offset:15744                  // 000000007714: D9FE3D80 8800000E
	ds_write_b32 v13, v43 offset:3232                          // 00000000771C: D81A0CA0 00002B0D
	v_mfma_f32_16x16x16_f16 v[72:75], a[110:111], a[22:23], v[72:75]// 000000007724: D3CD0048 1D222D6E
	s_cmp_eq_i32 s92, 0                                        // 00000000772C: BF00805C
	s_cbranch_scc1 label_0F58                                  // 000000007730: BF8500F0
	s_cmp_lt_i32 s74, 6                                        // 000000007734: BF04864A
	s_cbranch_scc0 label_0EDF                                  // 000000007738: BF84007E
	s_lshl_b32 s60, s74, 5                                     // 00000000773C: 8E3C854A
	s_lshl_b32 s61, 0, 4                                       // 000000007740: 8E3D8480
	s_add_i32 s60, s60, s61                                    // 000000007744: 813C3D3C
	v_sub_i32 v32, v232, s60                                   // 000000007748: D29D0020 000079E8
	s_mov_b32 s61, 0                                           // 000000007750: BEBD0080
	v_add_i32 v33, v32, s61                                    // 000000007754: D29C0021 00007B20
	v_cmp_gt_i32_e64 s[88:89], v33, 0                          // 00000000775C: D0C40058 00010121
	v_cmp_gt_i32_e64 s[90:91], v33, 1                          // 000000007764: D0C4005A 00010321
	v_cndmask_b32_e64 v52, v52, v178, s[88:89]                 // 00000000776C: D1000034 01636534
	v_cndmask_b32_e64 v53, v53, v178, s[90:91]                 // 000000007774: D1000035 016B6535
	v_cmp_gt_i32_e64 s[88:89], v33, 2                          // 00000000777C: D0C40058 00010521
	v_cmp_gt_i32_e64 s[90:91], v33, 3                          // 000000007784: D0C4005A 00010721
	v_cndmask_b32_e64 v54, v54, v178, s[88:89]                 // 00000000778C: D1000036 01636536
	v_cndmask_b32_e64 v55, v55, v178, s[90:91]                 // 000000007794: D1000037 016B6537
	s_mov_b32 s61, 64                                          // 00000000779C: BEBD00C0
	v_add_i32 v33, v32, s61                                    // 0000000077A0: D29C0021 00007B20
	v_cmp_gt_i32_e64 s[88:89], v33, 0                          // 0000000077A8: D0C40058 00010121
	v_cmp_gt_i32_e64 s[90:91], v33, 1                          // 0000000077B0: D0C4005A 00010321
	v_cndmask_b32_e64 v56, v56, v178, s[88:89]                 // 0000000077B8: D1000038 01636538
	v_cndmask_b32_e64 v57, v57, v178, s[90:91]                 // 0000000077C0: D1000039 016B6539
	v_cmp_gt_i32_e64 s[88:89], v33, 2                          // 0000000077C8: D0C40058 00010521
	v_cmp_gt_i32_e64 s[90:91], v33, 3                          // 0000000077D0: D0C4005A 00010721
	v_cndmask_b32_e64 v58, v58, v178, s[88:89]                 // 0000000077D8: D100003A 0163653A
	v_cndmask_b32_e64 v59, v59, v178, s[90:91]                 // 0000000077E0: D100003B 016B653B
	s_mov_b32 s61, 0x80                                        // 0000000077E8: BEBD00FF 00000080
	v_add_i32 v33, v32, s61                                    // 0000000077F0: D29C0021 00007B20
	v_cmp_gt_i32_e64 s[88:89], v33, 0                          // 0000000077F8: D0C40058 00010121
	v_cmp_gt_i32_e64 s[90:91], v33, 1                          // 000000007800: D0C4005A 00010321
	v_cndmask_b32_e64 v60, v60, v178, s[88:89]                 // 000000007808: D100003C 0163653C
	v_cndmask_b32_e64 v61, v61, v178, s[90:91]                 // 000000007810: D100003D 016B653D
	v_cmp_gt_i32_e64 s[88:89], v33, 2                          // 000000007818: D0C40058 00010521
	v_cmp_gt_i32_e64 s[90:91], v33, 3                          // 000000007820: D0C4005A 00010721
	v_cndmask_b32_e64 v62, v62, v178, s[88:89]                 // 000000007828: D100003E 0163653E
	v_cndmask_b32_e64 v63, v63, v178, s[90:91]                 // 000000007830: D100003F 016B653F
	s_lshl_b32 s60, s74, 5                                     // 000000007838: 8E3C854A
	s_lshl_b32 s61, 1, 4                                       // 00000000783C: 8E3D8481
	s_add_i32 s60, s60, s61                                    // 000000007840: 813C3D3C
	v_sub_i32 v32, v232, s60                                   // 000000007844: D29D0020 000079E8
	s_mov_b32 s61, 0                                           // 00000000784C: BEBD0080
	v_add_i32 v33, v32, s61                                    // 000000007850: D29C0021 00007B20
	v_cmp_gt_i32_e64 s[88:89], v33, 0                          // 000000007858: D0C40058 00010121
	v_cmp_gt_i32_e64 s[90:91], v33, 1                          // 000000007860: D0C4005A 00010321
	v_cndmask_b32_e64 v64, v64, v178, s[88:89]                 // 000000007868: D1000040 01636540
	v_cndmask_b32_e64 v65, v65, v178, s[90:91]                 // 000000007870: D1000041 016B6541
	v_cmp_gt_i32_e64 s[88:89], v33, 2                          // 000000007878: D0C40058 00010521
	v_cmp_gt_i32_e64 s[90:91], v33, 3                          // 000000007880: D0C4005A 00010721
	v_cndmask_b32_e64 v66, v66, v178, s[88:89]                 // 000000007888: D1000042 01636542
	v_cndmask_b32_e64 v67, v67, v178, s[90:91]                 // 000000007890: D1000043 016B6543
	s_mov_b32 s61, 64                                          // 000000007898: BEBD00C0
	v_add_i32 v33, v32, s61                                    // 00000000789C: D29C0021 00007B20
	v_cmp_gt_i32_e64 s[88:89], v33, 0                          // 0000000078A4: D0C40058 00010121
	v_cmp_gt_i32_e64 s[90:91], v33, 1                          // 0000000078AC: D0C4005A 00010321
	v_cndmask_b32_e64 v68, v68, v178, s[88:89]                 // 0000000078B4: D1000044 01636544
	v_cndmask_b32_e64 v69, v69, v178, s[90:91]                 // 0000000078BC: D1000045 016B6545
	v_cmp_gt_i32_e64 s[88:89], v33, 2                          // 0000000078C4: D0C40058 00010521
	v_cmp_gt_i32_e64 s[90:91], v33, 3                          // 0000000078CC: D0C4005A 00010721
	v_cndmask_b32_e64 v70, v70, v178, s[88:89]                 // 0000000078D4: D1000046 01636546
	v_cndmask_b32_e64 v71, v71, v178, s[90:91]                 // 0000000078DC: D1000047 016B6547
	s_mov_b32 s61, 0x80                                        // 0000000078E4: BEBD00FF 00000080
	v_add_i32 v33, v32, s61                                    // 0000000078EC: D29C0021 00007B20
	v_cmp_gt_i32_e64 s[88:89], v33, 0                          // 0000000078F4: D0C40058 00010121
	v_cmp_gt_i32_e64 s[90:91], v33, 1                          // 0000000078FC: D0C4005A 00010321
	v_cndmask_b32_e64 v72, v72, v178, s[88:89]                 // 000000007904: D1000048 01636548
	v_cndmask_b32_e64 v73, v73, v178, s[90:91]                 // 00000000790C: D1000049 016B6549
	v_cmp_gt_i32_e64 s[88:89], v33, 2                          // 000000007914: D0C40058 00010521
	v_cmp_gt_i32_e64 s[90:91], v33, 3                          // 00000000791C: D0C4005A 00010721
	v_cndmask_b32_e64 v74, v74, v178, s[88:89]                 // 000000007924: D100004A 0163654A
	v_cndmask_b32_e64 v75, v75, v178, s[90:91]                 // 00000000792C: D100004B 016B654B

0000000000007934 <label_0EDF>:
	s_cmp_lt_i32 s101, 0xc0                                    // 000000007934: BF04FF65 000000C0
	s_cbranch_scc0 label_0F58                                  // 00000000793C: BF84006D
	s_cmp_le_i32 s101, 64                                      // 000000007940: BF05C065
	s_cbranch_scc1 label_0EEB                                  // 000000007944: BF850007
	s_cmp_le_i32 s101, 0x80                                    // 000000007948: BF05FF65 00000080
	s_cbranch_scc1 label_0F0F                                  // 000000007950: BF85001F
	s_cmp_lt_i32 s101, 0xc0                                    // 000000007954: BF04FF65 000000C0
	s_cbranch_scc1 label_0F33                                  // 00000000795C: BF850040
	s_branch label_0F58                                        // 000000007960: BF820064

0000000000007964 <label_0EEB>:
	s_mov_b32 s60, 0                                           // 000000007964: BEBC0080
	v_and_b32_e32 v32, 15, v0                                  // 000000007968: 2640008F
	v_add_u32_e64 v32, v32, s60                                // 00000000796C: D1340020 00007920
	v_mul_i32_i24_e64 v33, s46, 16                             // 000000007974: D1060021 0001202E
	v_add_u32_e32 v32, v32, v33                                // 00000000797C: 68404320
	v_cmp_lt_u32_e64 s[60:61], v32, s101                       // 000000007980: D0C9003C 0000CB20
	s_nop 1                                                    // 000000007988: BF800001
	v_cndmask_b32_e64 v52, v178, v52, s[60:61]                 // 00000000798C: D1000034 00F269B2
	v_cndmask_b32_e64 v64, v178, v64, s[60:61]                 // 000000007994: D1000040 00F281B2
	v_cndmask_b32_e64 v53, v178, v53, s[60:61]                 // 00000000799C: D1000035 00F26BB2
	v_cndmask_b32_e64 v65, v178, v65, s[60:61]                 // 0000000079A4: D1000041 00F283B2
	v_cndmask_b32_e64 v54, v178, v54, s[60:61]                 // 0000000079AC: D1000036 00F26DB2
	v_cndmask_b32_e64 v66, v178, v66, s[60:61]                 // 0000000079B4: D1000042 00F285B2
	v_cndmask_b32_e64 v55, v178, v55, s[60:61]                 // 0000000079BC: D1000037 00F26FB2
	v_cndmask_b32_e64 v67, v178, v67, s[60:61]                 // 0000000079C4: D1000043 00F287B2
	s_branch label_0F2A                                        // 0000000079CC: BF82001B

00000000000079d0 <label_0F0F>:
	s_mov_b32 s60, 64                                          // 0000000079D0: BEBC00C0
	v_and_b32_e32 v32, 15, v0                                  // 0000000079D4: 2640008F
	v_add_u32_e64 v32, v32, s60                                // 0000000079D8: D1340020 00007920
	v_mul_i32_i24_e64 v33, s46, 16                             // 0000000079E0: D1060021 0001202E
	v_add_u32_e32 v32, v32, v33                                // 0000000079E8: 68404320
	v_cmp_lt_u32_e64 s[60:61], v32, s101                       // 0000000079EC: D0C9003C 0000CB20
	s_nop 1                                                    // 0000000079F4: BF800001
	v_cndmask_b32_e64 v56, v178, v56, s[60:61]                 // 0000000079F8: D1000038 00F271B2
	v_cndmask_b32_e64 v68, v178, v68, s[60:61]                 // 000000007A00: D1000044 00F289B2
	v_cndmask_b32_e64 v57, v178, v57, s[60:61]                 // 000000007A08: D1000039 00F273B2
	v_cndmask_b32_e64 v69, v178, v69, s[60:61]                 // 000000007A10: D1000045 00F28BB2
	v_cndmask_b32_e64 v58, v178, v58, s[60:61]                 // 000000007A18: D100003A 00F275B2
	v_cndmask_b32_e64 v70, v178, v70, s[60:61]                 // 000000007A20: D1000046 00F28DB2
	v_cndmask_b32_e64 v59, v178, v59, s[60:61]                 // 000000007A28: D100003B 00F277B2
	v_cndmask_b32_e64 v71, v178, v71, s[60:61]                 // 000000007A30: D1000047 00F28FB2
	s_branch label_0F4F                                        // 000000007A38: BF820025

0000000000007a3c <label_0F2A>:
	v_mov_b32_e32 v56, v178                                    // 000000007A3C: 7E7003B2
	v_mov_b32_e32 v68, v178                                    // 000000007A40: 7E8803B2
	v_mov_b32_e32 v57, v178                                    // 000000007A44: 7E7203B2
	v_mov_b32_e32 v69, v178                                    // 000000007A48: 7E8A03B2
	v_mov_b32_e32 v58, v178                                    // 000000007A4C: 7E7403B2
	v_mov_b32_e32 v70, v178                                    // 000000007A50: 7E8C03B2
	v_mov_b32_e32 v59, v178                                    // 000000007A54: 7E7603B2
	v_mov_b32_e32 v71, v178                                    // 000000007A58: 7E8E03B2
	s_branch label_0F4F                                        // 000000007A5C: BF82001C

0000000000007a60 <label_0F33>:
	s_mov_b32 s60, 0x80                                        // 000000007A60: BEBC00FF 00000080
	v_and_b32_e32 v32, 15, v0                                  // 000000007A68: 2640008F
	v_add_u32_e64 v32, v32, s60                                // 000000007A6C: D1340020 00007920
	v_mul_i32_i24_e64 v33, s46, 16                             // 000000007A74: D1060021 0001202E
	v_add_u32_e32 v32, v32, v33                                // 000000007A7C: 68404320
	v_cmp_lt_u32_e64 s[60:61], v32, s101                       // 000000007A80: D0C9003C 0000CB20
	s_nop 1                                                    // 000000007A88: BF800001
	v_cndmask_b32_e64 v60, v178, v60, s[60:61]                 // 000000007A8C: D100003C 00F279B2
	v_cndmask_b32_e64 v72, v178, v72, s[60:61]                 // 000000007A94: D1000048 00F291B2
	v_cndmask_b32_e64 v61, v178, v61, s[60:61]                 // 000000007A9C: D100003D 00F27BB2
	v_cndmask_b32_e64 v73, v178, v73, s[60:61]                 // 000000007AA4: D1000049 00F293B2
	v_cndmask_b32_e64 v62, v178, v62, s[60:61]                 // 000000007AAC: D100003E 00F27DB2
	v_cndmask_b32_e64 v74, v178, v74, s[60:61]                 // 000000007AB4: D100004A 00F295B2
	v_cndmask_b32_e64 v63, v178, v63, s[60:61]                 // 000000007ABC: D100003F 00F27FB2
	v_cndmask_b32_e64 v75, v178, v75, s[60:61]                 // 000000007AC4: D100004B 00F297B2
	s_branch label_0F58                                        // 000000007ACC: BF820009

0000000000007ad0 <label_0F4F>:
	v_mov_b32_e32 v60, v178                                    // 000000007AD0: 7E7803B2
	v_mov_b32_e32 v72, v178                                    // 000000007AD4: 7E9003B2
	v_mov_b32_e32 v61, v178                                    // 000000007AD8: 7E7A03B2
	v_mov_b32_e32 v73, v178                                    // 000000007ADC: 7E9203B2
	v_mov_b32_e32 v62, v178                                    // 000000007AE0: 7E7C03B2
	v_mov_b32_e32 v74, v178                                    // 000000007AE4: 7E9403B2
	v_mov_b32_e32 v63, v178                                    // 000000007AE8: 7E7E03B2
	v_mov_b32_e32 v75, v178                                    // 000000007AEC: 7E9603B2
	s_branch label_0F58                                        // 000000007AF0: BF820000

0000000000007af4 <label_0F58>:
	s_addk_i32 s74, 0x1                                        // 000000007AF4: B74A0001
	s_waitcnt lgkmcnt(8)                                       // 000000007AF8: BF8CC87F
	s_barrier                                                  // 000000007AFC: BF8A0000
	v_mfma_f32_16x16x16_f16 v[76:79], v[108:109], a[72:73], 0  // 000000007B00: D3CD004C 1202916C
	v_fma_f32 v52, v52, s57, -v140                             // 000000007B08: D1CB0034 86307334
	v_fma_f32 v53, v53, s57, -v141                             // 000000007B10: D1CB0035 86347335
	v_fma_f32 v54, v54, s57, -v142                             // 000000007B18: D1CB0036 86387336
	v_fma_f32 v55, v55, s57, -v143                             // 000000007B20: D1CB0037 863C7337
	v_fma_f32 v56, v56, s57, -v140                             // 000000007B28: D1CB0038 86307338
	v_fma_f32 v57, v57, s57, -v141                             // 000000007B30: D1CB0039 86347339
	v_mfma_f32_16x16x16_f16 v[76:79], v[110:111], a[74:75], v[76:79]// 000000007B38: D3CD004C 1532956E
	ds_read_b128 a[96:99], v14 offset:4352                     // 000000007B40: DBFE1100 6000000E
	ds_read_b128 a[100:103], v14 offset:4864                   // 000000007B48: DBFE1300 6400000E
	v_mfma_f32_16x16x16_f16 v[76:79], v[112:113], a[76:77], v[76:79]// 000000007B50: D3CD004C 15329970
	v_fma_f32 v58, v58, s57, -v142                             // 000000007B58: D1CB003A 8638733A
	v_fma_f32 v59, v59, s57, -v143                             // 000000007B60: D1CB003B 863C733B
	v_fma_f32 v60, v60, s57, -v140                             // 000000007B68: D1CB003C 8630733C
	v_fma_f32 v61, v61, s57, -v141                             // 000000007B70: D1CB003D 8634733D
	v_fma_f32 v62, v62, s57, -v142                             // 000000007B78: D1CB003E 8638733E
	v_fma_f32 v63, v63, s57, -v143                             // 000000007B80: D1CB003F 863C733F
	v_mfma_f32_16x16x16_f16 v[76:79], v[114:115], a[78:79], v[76:79]// 000000007B88: D3CD004C 15329D72
	v_fma_f32 v64, v64, s57, -v144                             // 000000007B90: D1CB0040 86407340
	v_fma_f32 v65, v65, s57, -v145                             // 000000007B98: D1CB0041 86447341
	v_fma_f32 v66, v66, s57, -v146                             // 000000007BA0: D1CB0042 86487342
	v_fma_f32 v67, v67, s57, -v147                             // 000000007BA8: D1CB0043 864C7343
	v_fma_f32 v68, v68, s57, -v144                             // 000000007BB0: D1CB0044 86407344
	v_fma_f32 v69, v69, s57, -v145                             // 000000007BB8: D1CB0045 86447345
	v_mfma_f32_16x16x16_f16 v[80:83], v[108:109], a[80:81], 0  // 000000007BC0: D3CD0050 1202A16C
	v_fma_f32 v70, v70, s57, -v146                             // 000000007BC8: D1CB0046 86487346
	v_fma_f32 v71, v71, s57, -v147                             // 000000007BD0: D1CB0047 864C7347
	v_fma_f32 v72, v72, s57, -v144                             // 000000007BD8: D1CB0048 86407348
	v_fma_f32 v73, v73, s57, -v145                             // 000000007BE0: D1CB0049 86447349
	v_fma_f32 v74, v74, s57, -v146                             // 000000007BE8: D1CB004A 8648734A
	v_fma_f32 v75, v75, s57, -v147                             // 000000007BF0: D1CB004B 864C734B
	v_mfma_f32_16x16x16_f16 v[80:83], v[110:111], a[82:83], v[80:83]// 000000007BF8: D3CD0050 1542A56E
	ds_read_b128 a[104:107], v14 offset:6528                   // 000000007C00: DBFE1980 6800000E
	ds_read_b128 a[108:111], v14 offset:7040                   // 000000007C08: DBFE1B80 6C00000E
	v_mfma_f32_16x16x16_f16 v[80:83], v[112:113], a[84:85], v[80:83]// 000000007C10: D3CD0050 1542A970
	v_exp_f32_e32 v52, v52                                     // 000000007C18: 7E684134
	v_exp_f32_e32 v53, v53                                     // 000000007C1C: 7E6A4135
	v_mfma_f32_16x16x16_f16 v[80:83], v[114:115], a[86:87], v[80:83]// 000000007C20: D3CD0050 1542AD72
	v_exp_f32_e32 v54, v54                                     // 000000007C28: 7E6C4136
	v_exp_f32_e32 v55, v55                                     // 000000007C2C: 7E6E4137
	v_mfma_f32_16x16x16_f16 v[84:87], v[108:109], a[88:89], 0  // 000000007C30: D3CD0054 1202B16C
	v_exp_f32_e32 v56, v56                                     // 000000007C38: 7E704138
	v_exp_f32_e32 v57, v57                                     // 000000007C3C: 7E724139
	v_mfma_f32_16x16x16_f16 v[84:87], v[110:111], a[90:91], v[84:87]// 000000007C40: D3CD0054 1552B56E
	ds_read_b64 v[156:157], v21 offset:31232                   // 000000007C48: D8EC7A00 9C000015
	ds_read_b64 v[158:159], v21 offset:33280                   // 000000007C50: D8EC8200 9E000015
	v_mfma_f32_16x16x16_f16 v[84:87], v[112:113], a[92:93], v[84:87]// 000000007C58: D3CD0054 1552B970
	v_exp_f32_e32 v58, v58                                     // 000000007C60: 7E74413A
	v_exp_f32_e32 v59, v59                                     // 000000007C64: 7E76413B
	v_mfma_f32_16x16x16_f16 v[84:87], v[114:115], a[94:95], v[84:87]// 000000007C68: D3CD0054 1552BD72
	ds_read_b64 v[160:161], v21 offset:35328                   // 000000007C70: D8EC8A00 A0000015
	ds_read_b64 v[162:163], v21 offset:37376                   // 000000007C78: D8EC9200 A2000015
	v_mfma_f32_16x16x16_f16 v[88:91], v[116:117], a[72:73], 0  // 000000007C80: D3CD0058 12029174
	v_exp_f32_e32 v60, v60                                     // 000000007C88: 7E78413C
	v_exp_f32_e32 v61, v61                                     // 000000007C8C: 7E7A413D
	v_mfma_f32_16x16x16_f16 v[88:91], v[118:119], a[74:75], v[88:91]// 000000007C90: D3CD0058 15629576
	v_exp_f32_e32 v62, v62                                     // 000000007C98: 7E7C413E
	v_exp_f32_e32 v63, v63                                     // 000000007C9C: 7E7E413F
	v_mfma_f32_16x16x16_f16 v[88:91], v[120:121], a[76:77], v[88:91]// 000000007CA0: D3CD0058 15629978
	v_exp_f32_e32 v64, v64                                     // 000000007CA8: 7E804140
	v_exp_f32_e32 v65, v65                                     // 000000007CAC: 7E824141
	v_mfma_f32_16x16x16_f16 v[88:91], v[122:123], a[78:79], v[88:91]// 000000007CB0: D3CD0058 15629D7A
	v_exp_f32_e32 v66, v66                                     // 000000007CB8: 7E844142
	v_exp_f32_e32 v67, v67                                     // 000000007CBC: 7E864143
	v_mfma_f32_16x16x16_f16 v[92:95], v[116:117], a[80:81], 0  // 000000007CC0: D3CD005C 1202A174
	v_exp_f32_e32 v68, v68                                     // 000000007CC8: 7E884144
	v_exp_f32_e32 v69, v69                                     // 000000007CCC: 7E8A4145
	v_mfma_f32_16x16x16_f16 v[92:95], v[118:119], a[82:83], v[92:95]// 000000007CD0: D3CD005C 1572A576
	v_exp_f32_e32 v70, v70                                     // 000000007CD8: 7E8C4146
	v_exp_f32_e32 v71, v71                                     // 000000007CDC: 7E8E4147
	v_mfma_f32_16x16x16_f16 v[92:95], v[120:121], a[84:85], v[92:95]// 000000007CE0: D3CD005C 1572A978
	v_exp_f32_e32 v72, v72                                     // 000000007CE8: 7E904148
	v_exp_f32_e32 v73, v73                                     // 000000007CEC: 7E924149
	v_mfma_f32_16x16x16_f16 v[92:95], v[122:123], a[86:87], v[92:95]// 000000007CF0: D3CD005C 1572AD7A
	v_exp_f32_e32 v74, v74                                     // 000000007CF8: 7E94414A
	v_exp_f32_e32 v75, v75                                     // 000000007CFC: 7E96414B
	v_mfma_f32_16x16x16_f16 v[96:99], v[116:117], a[88:89], 0  // 000000007D00: D3CD0060 1202B174
	v_cvt_pkrtz_f16_f32 v164, v52, v53                         // 000000007D08: D29600A4 00026B34
	v_cvt_pkrtz_f16_f32 v165, v54, v55                         // 000000007D10: D29600A5 00026F36
	v_cvt_pkrtz_f16_f32 v166, v56, v57                         // 000000007D18: D29600A6 00027338
	v_cvt_pkrtz_f16_f32 v167, v58, v59                         // 000000007D20: D29600A7 0002773A
	v_cvt_pkrtz_f16_f32 v168, v60, v61                         // 000000007D28: D29600A8 00027B3C
	v_cvt_pkrtz_f16_f32 v169, v62, v63                         // 000000007D30: D29600A9 00027F3E
	v_mfma_f32_16x16x16_f16 v[96:99], v[118:119], a[90:91], v[96:99]// 000000007D38: D3CD0060 1582B576
	v_cvt_pkrtz_f16_f32 v170, v64, v65                         // 000000007D40: D29600AA 00028340
	v_cvt_pkrtz_f16_f32 v171, v66, v67                         // 000000007D48: D29600AB 00028742
	v_cvt_pkrtz_f16_f32 v172, v68, v69                         // 000000007D50: D29600AC 00028B44
	v_cvt_pkrtz_f16_f32 v173, v70, v71                         // 000000007D58: D29600AD 00028F46
	v_cvt_pkrtz_f16_f32 v174, v72, v73                         // 000000007D60: D29600AE 00029348
	v_cvt_pkrtz_f16_f32 v175, v74, v75                         // 000000007D68: D29600AF 0002974A
	v_mfma_f32_16x16x16_f16 v[96:99], v[120:121], a[92:93], v[96:99]// 000000007D70: D3CD0060 1582B978
	v_add_u32_e32 v6, s66, v6                                  // 000000007D78: 680C0C42
	v_add_u32_e32 v7, s66, v7                                  // 000000007D7C: 680E0E42
	v_add_u32_e32 v8, s66, v8                                  // 000000007D80: 68101042
	v_add_u32_e32 v9, s66, v9                                  // 000000007D84: 68121242
	v_mfma_f32_16x16x16_f16 v[96:99], v[122:123], a[94:95], v[96:99]// 000000007D88: D3CD0060 1582BD7A
	s_waitcnt lgkmcnt(0)                                       // 000000007D90: BF8CC07F
	s_barrier                                                  // 000000007D94: BF8A0000
	v_mfma_f32_16x16x16_f16 v[180:183], v[124:125], v[164:165], v[180:183]// 000000007D98: D3CD00B4 06D3497C
	v_subrev_f32_dpp v76, v176, v76 quad_perm:[0,0,0,0] row_mask:0xf bank_mask:0xf// 000000007DA0: 069898FA FF0000B0
	v_subrev_f32_dpp v77, v176, v77 quad_perm:[1,1,1,1] row_mask:0xf bank_mask:0xf// 000000007DA8: 069A9AFA FF0055B0
	v_subrev_f32_dpp v78, v176, v78 quad_perm:[2,2,2,2] row_mask:0xf bank_mask:0xf// 000000007DB0: 069C9CFA FF00AAB0
	v_subrev_f32_dpp v79, v176, v79 quad_perm:[3,3,3,3] row_mask:0xf bank_mask:0xf// 000000007DB8: 069E9EFA FF00FFB0
	v_subrev_f32_dpp v80, v176, v80 quad_perm:[0,0,0,0] row_mask:0xf bank_mask:0xf// 000000007DC0: 06A0A0FA FF0000B0
	v_subrev_f32_dpp v81, v176, v81 quad_perm:[1,1,1,1] row_mask:0xf bank_mask:0xf// 000000007DC8: 06A2A2FA FF0055B0
	v_mfma_f32_16x16x16_f16 v[184:187], v[126:127], v[164:165], v[184:187]// 000000007DD0: D3CD00B8 06E3497E
	v_subrev_f32_dpp v82, v176, v82 quad_perm:[2,2,2,2] row_mask:0xf bank_mask:0xf// 000000007DD8: 06A4A4FA FF00AAB0
	v_subrev_f32_dpp v83, v176, v83 quad_perm:[3,3,3,3] row_mask:0xf bank_mask:0xf// 000000007DE0: 06A6A6FA FF00FFB0
	v_subrev_f32_dpp v84, v176, v84 quad_perm:[0,0,0,0] row_mask:0xf bank_mask:0xf// 000000007DE8: 06A8A8FA FF0000B0
	v_subrev_f32_dpp v85, v176, v85 quad_perm:[1,1,1,1] row_mask:0xf bank_mask:0xf// 000000007DF0: 06AAAAFA FF0055B0
	v_subrev_f32_dpp v86, v176, v86 quad_perm:[2,2,2,2] row_mask:0xf bank_mask:0xf// 000000007DF8: 06ACACFA FF00AAB0
	v_subrev_f32_dpp v87, v176, v87 quad_perm:[3,3,3,3] row_mask:0xf bank_mask:0xf// 000000007E00: 06AEAEFA FF00FFB0
	v_mfma_f32_16x16x16_f16 v[188:191], v[128:129], v[164:165], v[188:191]// 000000007E08: D3CD00BC 06F34980
	v_mul_f32_e32 v76, v52, v76                                // 000000007E10: 0A989934
	v_mul_f32_e32 v77, v53, v77                                // 000000007E14: 0A9A9B35
	v_mul_f32_e32 v78, v54, v78                                // 000000007E18: 0A9C9D36
	v_mul_f32_e32 v79, v55, v79                                // 000000007E1C: 0A9E9F37
	v_mul_f32_e32 v80, v56, v80                                // 000000007E20: 0AA0A138
	v_mul_f32_e32 v81, v57, v81                                // 000000007E24: 0AA2A339
	v_mfma_f32_16x16x16_f16 v[192:195], v[130:131], v[164:165], v[192:195]// 000000007E28: D3CD00C0 07034982
	v_mul_f32_e32 v82, v58, v82                                // 000000007E30: 0AA4A53A
	v_mul_f32_e32 v83, v59, v83                                // 000000007E34: 0AA6A73B
	v_mul_f32_e32 v84, v60, v84                                // 000000007E38: 0AA8A93C
	v_mul_f32_e32 v85, v61, v85                                // 000000007E3C: 0AAAAB3D
	v_mul_f32_e32 v86, v62, v86                                // 000000007E40: 0AACAD3E
	v_mul_f32_e32 v87, v63, v87                                // 000000007E44: 0AAEAF3F
	v_mfma_f32_16x16x16_f16 v[196:199], v[124:125], v[166:167], v[196:199]// 000000007E48: D3CD00C4 07134D7C
	v_cvt_pkrtz_f16_f32 v76, v76, v77                          // 000000007E50: D296004C 00029B4C
	v_cvt_pkrtz_f16_f32 v77, v78, v79                          // 000000007E58: D296004D 00029F4E
	v_cvt_pkrtz_f16_f32 v78, v80, v81                          // 000000007E60: D296004E 0002A350
	v_cvt_pkrtz_f16_f32 v79, v82, v83                          // 000000007E68: D296004F 0002A752
	v_cvt_pkrtz_f16_f32 v80, v84, v85                          // 000000007E70: D2960050 0002AB54
	v_cvt_pkrtz_f16_f32 v81, v86, v87                          // 000000007E78: D2960051 0002AF56
	v_mfma_f32_16x16x16_f16 v[200:203], v[126:127], v[166:167], v[200:203]// 000000007E80: D3CD00C8 07234D7E
	v_mov_b32_dpp v18, v76 quad_perm:[1,0,3,2] row_mask:0xf bank_mask:0xf// 000000007E88: 7E2402FA FF00B14C
	v_perm_b32 v52, v18, v76, v17                              // 000000007E90: D1ED0034 04469912
	v_mov_b32_dpp v18, v77 quad_perm:[1,0,3,2] row_mask:0xf bank_mask:0xf// 000000007E98: 7E2402FA FF00B14D
	v_perm_b32 v53, v18, v77, v17                              // 000000007EA0: D1ED0035 04469B12
	v_mov_b32_dpp v18, v78 quad_perm:[1,0,3,2] row_mask:0xf bank_mask:0xf// 000000007EA8: 7E2402FA FF00B14E
	v_perm_b32 v54, v18, v78, v17                              // 000000007EB0: D1ED0036 04469D12
	v_mfma_f32_16x16x16_f16 v[204:207], v[128:129], v[166:167], v[204:207]// 000000007EB8: D3CD00CC 07334D80
	ds_write_b32 v20, v52 offset:17408                         // 000000007EC0: D81A4400 00003414
	ds_write_b32 v20, v53 offset:17952                         // 000000007EC8: D81A4620 00003514
	v_mfma_f32_16x16x16_f16 v[208:211], v[130:131], v[166:167], v[208:211]// 000000007ED0: D3CD00D0 07434D82
	v_mov_b32_dpp v18, v79 quad_perm:[1,0,3,2] row_mask:0xf bank_mask:0xf// 000000007ED8: 7E2402FA FF00B14F
	v_perm_b32 v55, v18, v79, v17                              // 000000007EE0: D1ED0037 04469F12
	v_mov_b32_dpp v18, v80 quad_perm:[1,0,3,2] row_mask:0xf bank_mask:0xf// 000000007EE8: 7E2402FA FF00B150
	v_perm_b32 v56, v18, v80, v17                              // 000000007EF0: D1ED0038 0446A112
	v_mov_b32_dpp v18, v81 quad_perm:[1,0,3,2] row_mask:0xf bank_mask:0xf// 000000007EF8: 7E2402FA FF00B151
	v_perm_b32 v57, v18, v81, v17                              // 000000007F00: D1ED0039 0446A312
	v_mfma_f32_16x16x16_f16 v[212:215], v[124:125], v[168:169], v[212:215]// 000000007F08: D3CD00D4 0753517C
	ds_write_b32 v20, v54 offset:19712                         // 000000007F10: D81A4D00 00003614
	ds_write_b32 v20, v55 offset:20256                         // 000000007F18: D81A4F20 00003714
	v_mfma_f32_16x16x16_f16 v[216:219], v[126:127], v[168:169], v[216:219]// 000000007F20: D3CD00D8 0763517E
	v_subrev_f32_dpp v88, v177, v88 quad_perm:[0,0,0,0] row_mask:0xf bank_mask:0xf// 000000007F28: 06B0B0FA FF0000B1
	v_subrev_f32_dpp v89, v177, v89 quad_perm:[1,1,1,1] row_mask:0xf bank_mask:0xf// 000000007F30: 06B2B2FA FF0055B1
	v_subrev_f32_dpp v90, v177, v90 quad_perm:[2,2,2,2] row_mask:0xf bank_mask:0xf// 000000007F38: 06B4B4FA FF00AAB1
	v_subrev_f32_dpp v91, v177, v91 quad_perm:[3,3,3,3] row_mask:0xf bank_mask:0xf// 000000007F40: 06B6B6FA FF00FFB1
	v_subrev_f32_dpp v92, v177, v92 quad_perm:[0,0,0,0] row_mask:0xf bank_mask:0xf// 000000007F48: 06B8B8FA FF0000B1
	v_subrev_f32_dpp v93, v177, v93 quad_perm:[1,1,1,1] row_mask:0xf bank_mask:0xf// 000000007F50: 06BABAFA FF0055B1
	v_mfma_f32_16x16x16_f16 v[220:223], v[128:129], v[168:169], v[220:223]// 000000007F58: D3CD00DC 07735180
	ds_write_b32 v20, v56 offset:22016                         // 000000007F60: D81A5600 00003814
	ds_write_b32 v20, v57 offset:22560                         // 000000007F68: D81A5820 00003914
	v_mfma_f32_16x16x16_f16 v[224:227], v[130:131], v[168:169], v[224:227]// 000000007F70: D3CD00E0 07835182
	v_subrev_f32_dpp v94, v177, v94 quad_perm:[2,2,2,2] row_mask:0xf bank_mask:0xf// 000000007F78: 06BCBCFA FF00AAB1
	v_subrev_f32_dpp v95, v177, v95 quad_perm:[3,3,3,3] row_mask:0xf bank_mask:0xf// 000000007F80: 06BEBEFA FF00FFB1
	v_subrev_f32_dpp v96, v177, v96 quad_perm:[0,0,0,0] row_mask:0xf bank_mask:0xf// 000000007F88: 06C0C0FA FF0000B1
	v_subrev_f32_dpp v97, v177, v97 quad_perm:[1,1,1,1] row_mask:0xf bank_mask:0xf// 000000007F90: 06C2C2FA FF0055B1
	v_subrev_f32_dpp v98, v177, v98 quad_perm:[2,2,2,2] row_mask:0xf bank_mask:0xf// 000000007F98: 06C4C4FA FF00AAB1
	v_subrev_f32_dpp v99, v177, v99 quad_perm:[3,3,3,3] row_mask:0xf bank_mask:0xf// 000000007FA0: 06C6C6FA FF00FFB1
	v_mfma_f32_16x16x16_f16 v[180:183], v[132:133], v[170:171], v[180:183]// 000000007FA8: D3CD00B4 06D35584
	v_mul_f32_e32 v88, v64, v88                                // 000000007FB0: 0AB0B140
	v_mul_f32_e32 v89, v65, v89                                // 000000007FB4: 0AB2B341
	v_mul_f32_e32 v90, v66, v90                                // 000000007FB8: 0AB4B542
	v_mul_f32_e32 v91, v67, v91                                // 000000007FBC: 0AB6B743
	v_mul_f32_e32 v92, v68, v92                                // 000000007FC0: 0AB8B944
	v_mul_f32_e32 v93, v69, v93                                // 000000007FC4: 0ABABB45
	v_mfma_f32_16x16x16_f16 v[184:187], v[134:135], v[170:171], v[184:187]// 000000007FC8: D3CD00B8 06E35586
	v_mul_f32_e32 v94, v70, v94                                // 000000007FD0: 0ABCBD46
	v_mul_f32_e32 v95, v71, v95                                // 000000007FD4: 0ABEBF47
	v_mul_f32_e32 v96, v72, v96                                // 000000007FD8: 0AC0C148
	v_mul_f32_e32 v97, v73, v97                                // 000000007FDC: 0AC2C349
	v_mul_f32_e32 v98, v74, v98                                // 000000007FE0: 0AC4C54A
	v_mul_f32_e32 v99, v75, v99                                // 000000007FE4: 0AC6C74B
	v_mfma_f32_16x16x16_f16 v[188:191], v[136:137], v[170:171], v[188:191]// 000000007FE8: D3CD00BC 06F35588
	v_cvt_pkrtz_f16_f32 v82, v88, v89                          // 000000007FF0: D2960052 0002B358
	v_cvt_pkrtz_f16_f32 v83, v90, v91                          // 000000007FF8: D2960053 0002B75A
	v_cvt_pkrtz_f16_f32 v84, v92, v93                          // 000000008000: D2960054 0002BB5C
	v_cvt_pkrtz_f16_f32 v85, v94, v95                          // 000000008008: D2960055 0002BF5E
	v_cvt_pkrtz_f16_f32 v86, v96, v97                          // 000000008010: D2960056 0002C360
	v_cvt_pkrtz_f16_f32 v87, v98, v99                          // 000000008018: D2960057 0002C762
	v_mfma_f32_16x16x16_f16 v[192:195], v[138:139], v[170:171], v[192:195]// 000000008020: D3CD00C0 0703558A
	v_mov_b32_dpp v18, v82 quad_perm:[1,0,3,2] row_mask:0xf bank_mask:0xf// 000000008028: 7E2402FA FF00B152
	v_perm_b32 v58, v18, v82, v17                              // 000000008030: D1ED003A 0446A512
	v_mov_b32_dpp v18, v83 quad_perm:[1,0,3,2] row_mask:0xf bank_mask:0xf// 000000008038: 7E2402FA FF00B153
	v_perm_b32 v59, v18, v83, v17                              // 000000008040: D1ED003B 0446A712
	v_mov_b32_dpp v18, v84 quad_perm:[1,0,3,2] row_mask:0xf bank_mask:0xf// 000000008048: 7E2402FA FF00B154
	v_perm_b32 v60, v18, v84, v17                              // 000000008050: D1ED003C 0446A912
	v_mfma_f32_16x16x16_f16 v[196:199], v[132:133], v[172:173], v[196:199]// 000000008058: D3CD00C4 07135984
	ds_write_b32 v20, v58 offset:24320                         // 000000008060: D81A5F00 00003A14
	ds_write_b32 v20, v59 offset:24864                         // 000000008068: D81A6120 00003B14
	v_mfma_f32_16x16x16_f16 v[200:203], v[134:135], v[172:173], v[200:203]// 000000008070: D3CD00C8 07235986
	v_mov_b32_dpp v18, v85 quad_perm:[1,0,3,2] row_mask:0xf bank_mask:0xf// 000000008078: 7E2402FA FF00B155
	v_perm_b32 v61, v18, v85, v17                              // 000000008080: D1ED003D 0446AB12
	v_mov_b32_dpp v18, v86 quad_perm:[1,0,3,2] row_mask:0xf bank_mask:0xf// 000000008088: 7E2402FA FF00B156
	v_perm_b32 v62, v18, v86, v17                              // 000000008090: D1ED003E 0446AD12
	v_mov_b32_dpp v18, v87 quad_perm:[1,0,3,2] row_mask:0xf bank_mask:0xf// 000000008098: 7E2402FA FF00B157
	v_perm_b32 v63, v18, v87, v17                              // 0000000080A0: D1ED003F 0446AF12
	v_mfma_f32_16x16x16_f16 v[204:207], v[136:137], v[172:173], v[204:207]// 0000000080A8: D3CD00CC 07335988
	ds_write_b32 v20, v60 offset:26624                         // 0000000080B0: D81A6800 00003C14
	ds_write_b32 v20, v61 offset:27168                         // 0000000080B8: D81A6A20 00003D14
	ds_write_b32 v20, v62 offset:28928                         // 0000000080C0: D81A7100 00003E14
	ds_write_b32 v20, v63 offset:29472                         // 0000000080C8: D81A7320 00003F14
	v_mfma_f32_16x16x16_f16 v[208:211], v[138:139], v[172:173], v[208:211]// 0000000080D0: D3CD00D0 0743598A
	v_mfma_f32_16x16x16_f16 v[212:215], v[132:133], v[174:175], v[212:215]// 0000000080D8: D3CD00D4 07535D84
	ds_write_b32 v15, v100 offset:4352                         // 0000000080E0: D81A1100 0000640F
	ds_write_b32 v15, v101 offset:5408                         // 0000000080E8: D81A1520 0000650F
	v_mfma_f32_16x16x16_f16 v[216:219], v[134:135], v[174:175], v[216:219]// 0000000080F0: D3CD00D8 07635D86
	v_mfma_f32_16x16x16_f16 v[220:223], v[136:137], v[174:175], v[220:223]// 0000000080F8: D3CD00DC 07735D88
	ds_write_b32 v15, v102 offset:6528                         // 000000008100: D81A1980 0000660F
	ds_write_b32 v15, v103 offset:7584                         // 000000008108: D81A1DA0 0000670F
	v_mfma_f32_16x16x16_f16 v[224:227], v[138:139], v[174:175], v[224:227]// 000000008110: D3CD00E0 07835D8A
	s_nop 0                                                    // 000000008118: BF800000
	s_nop 0                                                    // 00000000811C: BF800000
	s_nop 0                                                    // 000000008120: BF800000
	s_barrier                                                  // 000000008124: BF8A0000
	v_mfma_f32_16x16x16_f16 a[112:115], a[96:97], v[76:77], a[112:115]// 000000008128: D3CD8070 0DC29960
	ds_read_b32 v140, v23 offset:39936                         // 000000008130: D86C9C00 8C000017
	ds_read_b32 v144, v23 offset:40000                         // 000000008138: D86C9C40 90000017
	ds_read_b32 v176, v23 offset:40192                         // 000000008140: D86C9D00 B0000017
	ds_read_b32 v177, v23 offset:40256                         // 000000008148: D86C9D40 B1000017
	v_mfma_f32_16x16x16_f16 a[116:119], a[98:99], v[76:77], a[116:119]// 000000008150: D3CD8074 0DD29962
	buffer_atomic_add_f32 v156, v6, s[32:35], 0 idxen          // 000000008158: E1342000 80089C06
	v_mfma_f32_16x16x16_f16 a[120:123], a[100:101], v[76:77], a[120:123]// 000000008160: D3CD8078 0DE29964
	s_waitcnt lgkmcnt(8)                                       // 000000008168: BF8CC87F
	s_barrier                                                  // 00000000816C: BF8A0000
	v_mfma_f32_16x16x16_f16 a[124:127], a[102:103], v[76:77], a[124:127]// 000000008170: D3CD807C 0DF29966
	v_mfma_f32_16x16x16_f16 a[128:131], a[96:97], v[78:79], a[128:131]// 000000008178: D3CD8080 0E029D60
	ds_read_b128 v[52:55], v19 offset:17408                    // 000000008180: D9FE4400 34000013
	v_mfma_f32_16x16x16_f16 a[132:135], a[98:99], v[78:79], a[132:135]// 000000008188: D3CD8084 0E129D62
	v_mfma_f32_16x16x16_f16 a[136:139], a[100:101], v[78:79], a[136:139]// 000000008190: D3CD8088 0E229D64
	ds_read_b128 v[56:59], v19 offset:18560                    // 000000008198: D9FE4880 38000013
	v_mfma_f32_16x16x16_f16 a[140:143], a[102:103], v[78:79], a[140:143]// 0000000081A0: D3CD808C 0E329D66
	buffer_atomic_add_f32 v157, v7, s[32:35], 0 idxen          // 0000000081A8: E1342000 80089D07
	v_mfma_f32_16x16x16_f16 a[144:147], a[96:97], v[80:81], a[144:147]// 0000000081B0: D3CD8090 0E42A160
	ds_read_b128 v[60:63], v19 offset:19712                    // 0000000081B8: D9FE4D00 3C000013
	v_mfma_f32_16x16x16_f16 a[148:151], a[98:99], v[80:81], a[148:151]// 0000000081C0: D3CD8094 0E52A162
	v_mfma_f32_16x16x16_f16 a[152:155], a[100:101], v[80:81], a[152:155]// 0000000081C8: D3CD8098 0E62A164
	ds_read_b128 v[64:67], v19 offset:20864                    // 0000000081D0: D9FE5180 40000013
	v_mfma_f32_16x16x16_f16 a[156:159], a[102:103], v[80:81], a[156:159]// 0000000081D8: D3CD809C 0E72A166
	v_mfma_f32_16x16x16_f16 a[112:115], a[104:105], v[82:83], a[112:115]// 0000000081E0: D3CD8070 0DC2A568
	ds_read_b128 v[68:71], v19 offset:22016                    // 0000000081E8: D9FE5600 44000013
	v_mfma_f32_16x16x16_f16 a[116:119], a[106:107], v[82:83], a[116:119]// 0000000081F0: D3CD8074 0DD2A56A
	buffer_atomic_add_f32 v158, v6, s[32:35], 0 idxen offset:128// 0000000081F8: E1342080 80089E06
	v_mfma_f32_16x16x16_f16 a[120:123], a[108:109], v[82:83], a[120:123]// 000000008200: D3CD8078 0DE2A56C
	ds_read_b128 v[72:75], v19 offset:23168                    // 000000008208: D9FE5A80 48000013
	v_mfma_f32_16x16x16_f16 a[124:127], a[110:111], v[82:83], a[124:127]// 000000008210: D3CD807C 0DF2A56E
	v_mfma_f32_16x16x16_f16 a[128:131], a[104:105], v[84:85], a[128:131]// 000000008218: D3CD8080 0E02A968
	ds_write_b32 v15, v104 offset:13056                        // 000000008220: D81A3300 0000680F
	v_mfma_f32_16x16x16_f16 a[132:135], a[106:107], v[84:85], a[132:135]// 000000008228: D3CD8084 0E12A96A
	v_mfma_f32_16x16x16_f16 a[136:139], a[108:109], v[84:85], a[136:139]// 000000008230: D3CD8088 0E22A96C
	ds_write_b32 v15, v105 offset:14112                        // 000000008238: D81A3720 0000690F
	v_mfma_f32_16x16x16_f16 a[140:143], a[110:111], v[84:85], a[140:143]// 000000008240: D3CD808C 0E32A96E
	buffer_atomic_add_f32 v159, v7, s[32:35], 0 idxen offset:128// 000000008248: E1342080 80089F07
	v_mfma_f32_16x16x16_f16 a[144:147], a[104:105], v[86:87], a[144:147]// 000000008250: D3CD8090 0E42AD68
	ds_write_b32 v15, v106 offset:15232                        // 000000008258: D81A3B80 00006A0F
	v_mfma_f32_16x16x16_f16 a[148:151], a[106:107], v[86:87], a[148:151]// 000000008260: D3CD8094 0E52AD6A
	v_mfma_f32_16x16x16_f16 a[152:155], a[108:109], v[86:87], a[152:155]// 000000008268: D3CD8098 0E62AD6C
	ds_write_b32 v15, v107 offset:16288                        // 000000008270: D81A3FA0 00006B0F
	v_mfma_f32_16x16x16_f16 a[156:159], a[110:111], v[86:87], a[156:159]// 000000008278: D3CD809C 0E72AD6E
	s_waitcnt vmcnt(8) lgkmcnt(4)                              // 000000008280: BF8C0478
	s_barrier                                                  // 000000008284: BF8A0000
	v_mfma_f32_16x16x16_f16 v[148:151], v[52:53], a[24:25], 0  // 000000008288: D3CD0094 12023134
	ds_read_b128 a[96:99], v12                                 // 000000008290: DBFE0000 6000000C
	buffer_load_dword v40, v1, s[8:11], 0 idxen                // 000000008298: E0502000 80022801
	v_mfma_f32_16x16x16_f16 v[148:151], v[54:55], a[28:29], v[148:151]// 0000000082A0: D3CD0094 16523936
	v_mul_f32_e32 v140, s48, v140                              // 0000000082A8: 0B191830
	v_mul_f32_e32 v144, s48, v144                              // 0000000082AC: 0B212030
	s_nop 0                                                    // 0000000082B0: BF800000
	v_mfma_f32_16x16x16_f16 v[148:151], v[56:57], a[32:33], v[148:151]// 0000000082B4: D3CD0094 16524138
	ds_read_b128 a[100:103], v12 offset:512                    // 0000000082BC: DBFE0200 6400000C
	buffer_load_dword v41, v2, s[8:11], 0 idxen                // 0000000082C4: E0502000 80022902
	v_mfma_f32_16x16x16_f16 v[148:151], v[58:59], a[36:37], v[148:151]// 0000000082CC: D3CD0094 1652493A
	v_mfma_f32_16x16x16_f16 v[148:151], v[60:61], a[40:41], v[148:151]// 0000000082D4: D3CD0094 1652513C
	ds_read_b128 a[104:107], v12 offset:2176                   // 0000000082DC: DBFE0880 6800000C
	buffer_load_dword v42, v3, s[8:11], 0 idxen                // 0000000082E4: E0502000 80022A03
	v_mfma_f32_16x16x16_f16 v[148:151], v[62:63], a[44:45], v[148:151]// 0000000082EC: D3CD0094 1652593E
	v_perm_b32 v100, v37, v36, s63                             // 0000000082F4: D1ED0064 00FE4925
	v_perm_b32 v101, v37, v36, s64                             // 0000000082FC: D1ED0065 01024925
	v_mfma_f32_16x16x16_f16 v[148:151], v[64:65], a[48:49], v[148:151]// 000000008304: D3CD0094 16526140
	ds_read_b128 a[108:111], v12 offset:2688                   // 00000000830C: DBFE0A80 6C00000C
	buffer_load_dword v43, v4, s[8:11], 0 idxen                // 000000008314: E0502000 80022B04
	v_mfma_f32_16x16x16_f16 v[148:151], v[66:67], a[52:53], v[148:151]// 00000000831C: D3CD0094 16526942
	v_perm_b32 v102, v39, v38, s63                             // 000000008324: D1ED0066 00FE4D27
	v_perm_b32 v103, v39, v38, s64                             // 00000000832C: D1ED0067 01024D27
	v_mfma_f32_16x16x16_f16 v[148:151], v[68:69], a[56:57], v[148:151]// 000000008334: D3CD0094 16527144
	ds_read_b128 v[108:111], v12 offset:8704                   // 00000000833C: D9FE2200 6C00000C
	buffer_load_dword v48, v228, s[20:23], 0 idxen             // 000000008344: E0502000 800530E4
	v_mfma_f32_16x16x16_f16 v[148:151], v[70:71], a[60:61], v[148:151]// 00000000834C: D3CD0094 16527946
	v_perm_b32 v104, v45, v44, s63                             // 000000008354: D1ED0068 00FE592D
	v_perm_b32 v105, v45, v44, s64                             // 00000000835C: D1ED0069 0102592D
	v_mfma_f32_16x16x16_f16 v[148:151], v[72:73], a[64:65], v[148:151]// 000000008364: D3CD0094 16528148
	ds_read_b128 v[112:115], v12 offset:9216                   // 00000000836C: D9FE2400 7000000C
	buffer_load_dword v49, v229, s[20:23], 0 idxen             // 000000008374: E0502000 800531E5
	v_mfma_f32_16x16x16_f16 v[148:151], v[74:75], a[68:69], v[148:151]// 00000000837C: D3CD0094 1652894A
	v_perm_b32 v106, v47, v46, s63                             // 000000008384: D1ED006A 00FE5D2F
	v_perm_b32 v107, v47, v46, s64                             // 00000000838C: D1ED006B 01025D2F
	v_mfma_f32_16x16x16_f16 v[152:155], v[52:53], a[26:27], 0  // 000000008394: D3CD0098 12023534
	ds_read_b128 v[116:119], v12 offset:10880                  // 00000000839C: D9FE2A80 7400000C
	buffer_load_dword v50, v230, s[20:23], 0 idxen             // 0000000083A4: E0502000 800532E6
	v_mfma_f32_16x16x16_f16 v[152:155], v[54:55], a[30:31], v[152:155]// 0000000083AC: D3CD0098 16623D36
	v_mov_b32_dpp v143, v140 quad_perm:[3,3,3,3] row_mask:0xf bank_mask:0xf// 0000000083B4: 7F1E02FA FF00FF8C
	v_mov_b32_dpp v142, v140 quad_perm:[2,2,2,2] row_mask:0xf bank_mask:0xf// 0000000083BC: 7F1C02FA FF00AA8C
	v_mov_b32_dpp v141, v140 quad_perm:[1,1,1,1] row_mask:0xf bank_mask:0xf// 0000000083C4: 7F1A02FA FF00558C
	v_mov_b32_dpp v140, v140 quad_perm:[0,0,0,0] row_mask:0xf bank_mask:0xf// 0000000083CC: 7F1802FA FF00008C
	v_mfma_f32_16x16x16_f16 v[152:155], v[56:57], a[34:35], v[152:155]// 0000000083D4: D3CD0098 16624538
	ds_read_b128 v[120:123], v12 offset:11392                  // 0000000083DC: D9FE2C80 7800000C
	buffer_load_dword v51, v231, s[20:23], 0 idxen             // 0000000083E4: E0502000 800533E7
	v_mfma_f32_16x16x16_f16 v[152:155], v[58:59], a[38:39], v[152:155]// 0000000083EC: D3CD0098 16624D3A
	v_mov_b32_dpp v147, v144 quad_perm:[3,3,3,3] row_mask:0xf bank_mask:0xf// 0000000083F4: 7F2602FA FF00FF90
	v_mov_b32_dpp v146, v144 quad_perm:[2,2,2,2] row_mask:0xf bank_mask:0xf// 0000000083FC: 7F2402FA FF00AA90
	v_mov_b32_dpp v145, v144 quad_perm:[1,1,1,1] row_mask:0xf bank_mask:0xf// 000000008404: 7F2202FA FF005590
	v_mov_b32_dpp v144, v144 quad_perm:[0,0,0,0] row_mask:0xf bank_mask:0xf// 00000000840C: 7F2002FA FF000090
	s_add_u32 s60, 0x80, s59                                   // 000000008414: 803C3BFF 00000080
	v_mfma_f32_16x16x16_f16 v[152:155], v[60:61], a[42:43], v[152:155]// 00000000841C: D3CD0098 1662553C
	buffer_load_dword v11, s[24:27], 0 idxen lds               // 000000008424: E0512000 8006000B
	v_mfma_f32_16x16x16_f16 v[152:155], v[62:63], a[46:47], v[152:155]// 00000000842C: D3CD0098 16625D3E
	s_cmp_lt_u32 s60, s58                                      // 000000008434: BF0A3A3C
	s_cselect_b32 s68, s68, 0                                  // 000000008438: 85448044
	s_cselect_b32 s99, s99, 0                                  // 00000000843C: 85638063
	s_cselect_b32 s69, s69, 0                                  // 000000008440: 85458045
	v_mfma_f32_16x16x16_f16 v[152:155], v[64:65], a[50:51], v[152:155]// 000000008444: D3CD0098 16626540
	v_add_u32_e32 v1, s68, v1                                  // 00000000844C: 68020244
	v_add_u32_e32 v2, s68, v2                                  // 000000008450: 68040444
	v_add_u32_e32 v3, s68, v3                                  // 000000008454: 68060644
	v_add_u32_e32 v4, s68, v4                                  // 000000008458: 68080844
	v_mfma_f32_16x16x16_f16 v[152:155], v[66:67], a[54:55], v[152:155]// 00000000845C: D3CD0098 16626D42
	v_add_u32_e32 v228, s99, v228                              // 000000008464: 69C9C863
	v_add_u32_e32 v229, s99, v229                              // 000000008468: 69CBCA63
	v_add_u32_e32 v230, s99, v230                              // 00000000846C: 69CDCC63
	v_add_u32_e32 v231, s99, v231                              // 000000008470: 69CFCE63
	v_mfma_f32_16x16x16_f16 v[152:155], v[68:69], a[58:59], v[152:155]// 000000008474: D3CD0098 16627544
	s_mov_b32 m0, s78                                          // 00000000847C: BEFC004E
	v_add_u32_e32 v11, s69, v11                                // 000000008480: 68161645
	v_mfma_f32_16x16x16_f16 v[152:155], v[70:71], a[62:63], v[152:155]// 000000008484: D3CD0098 16627D46
	s_cmp_ge_u32 s59, s73                                      // 00000000848C: BF09493B
	s_cselect_b32 s66, s67, s66                                // 000000008490: 85424243
	v_mfma_f32_16x16x16_f16 v[152:155], v[72:73], a[66:67], v[152:155]// 000000008494: D3CD0098 16628548
	s_addk_i32 s59, 0x20                                       // 00000000849C: B73B0020
	s_nop 0                                                    // 0000000084A0: BF800000
	s_cmp_lt_i32 s59, s58                                      // 0000000084A4: BF043A3B
	v_mfma_f32_16x16x16_f16 v[152:155], v[74:75], a[70:71], v[152:155]// 0000000084A8: D3CD0098 16628D4A
	s_cbranch_scc0 label_0DF8                                  // 0000000084B0: BF84FC39
	s_waitcnt lgkmcnt(0)                                       // 0000000084B4: BF8CC07F
	s_barrier                                                  // 0000000084B8: BF8A0000
	v_mfma_f32_16x16x16_f16 v[52:55], a[96:97], a[0:1], 0      // 0000000084BC: D3CD0034 1A020160
	v_mul_f32_e32 v148, s47, v148                              // 0000000084C4: 0B29282F
	v_mul_f32_e32 v149, s47, v149                              // 0000000084C8: 0B2B2A2F
	v_mfma_f32_16x16x16_f16 v[52:55], a[98:99], a[2:3], v[52:55]// 0000000084CC: D3CD0034 1CD20562
	ds_write_b32 v13, v44 offset:8704                          // 0000000084D4: D81A2200 00002C0D
	ds_write_b32 v13, v45 offset:9760                          // 0000000084DC: D81A2620 00002D0D
	v_mfma_f32_16x16x16_f16 v[52:55], a[100:101], a[4:5], v[52:55]// 0000000084E4: D3CD0034 1CD20964
	v_mul_f32_e32 v150, s47, v150                              // 0000000084EC: 0B2D2C2F
	v_mul_f32_e32 v151, s47, v151                              // 0000000084F0: 0B2F2E2F
	v_mfma_f32_16x16x16_f16 v[52:55], a[102:103], a[6:7], v[52:55]// 0000000084F4: D3CD0034 1CD20D66
	ds_write_b32 v13, v46 offset:10880                         // 0000000084FC: D81A2A80 00002E0D
	ds_write_b32 v13, v47 offset:11936                         // 000000008504: D81A2EA0 00002F0D
	v_mfma_f32_16x16x16_f16 v[56:59], a[96:97], a[8:9], 0      // 00000000850C: D3CD0038 1A021160
	v_mul_f32_e32 v152, s47, v152                              // 000000008514: 0B31302F
	v_mul_f32_e32 v153, s47, v153                              // 000000008518: 0B33322F
	v_mfma_f32_16x16x16_f16 v[56:59], a[98:99], a[10:11], v[56:59]// 00000000851C: D3CD0038 1CE21562
	ds_write_b64 v22, v[148:149] offset:31232                  // 000000008524: D89A7A00 00009416
	v_mfma_f32_16x16x16_f16 v[56:59], a[100:101], a[12:13], v[56:59]// 00000000852C: D3CD0038 1CE21964
	v_mul_f32_e32 v154, s47, v154                              // 000000008534: 0B35342F
	v_mul_f32_e32 v155, s47, v155                              // 000000008538: 0B37362F
	v_mfma_f32_16x16x16_f16 v[56:59], a[102:103], a[14:15], v[56:59]// 00000000853C: D3CD0038 1CE21D66
	ds_write_b64 v22, v[150:151] offset:31744                  // 000000008544: D89A7C00 00009616
	v_mfma_f32_16x16x16_f16 v[60:63], a[96:97], a[16:17], 0    // 00000000854C: D3CD003C 1A022160
	buffer_atomic_add_f32 v160, v8, s[32:35], 0 idxen          // 000000008554: E1342000 8008A008
	v_mfma_f32_16x16x16_f16 v[60:63], a[98:99], a[18:19], v[60:63]// 00000000855C: D3CD003C 1CF22562
	ds_write_b64 v22, v[152:153] offset:32256                  // 000000008564: D89A7E00 00009816
	v_mfma_f32_16x16x16_f16 v[60:63], a[100:101], a[20:21], v[60:63]// 00000000856C: D3CD003C 1CF22964
	v_mfma_f32_16x16x16_f16 v[60:63], a[102:103], a[22:23], v[60:63]// 000000008574: D3CD003C 1CF22D66
	ds_write_b64 v22, v[154:155] offset:32768                  // 00000000857C: D89A8000 00009A16
	v_mfma_f32_16x16x16_f16 v[64:67], a[104:105], a[0:1], 0    // 000000008584: D3CD0040 1A020168
	buffer_atomic_add_f32 v161, v9, s[32:35], 0 idxen          // 00000000858C: E1342000 8008A109
	v_mfma_f32_16x16x16_f16 v[64:67], a[106:107], a[2:3], v[64:67]// 000000008594: D3CD0040 1D02056A
	ds_read_b128 v[124:127], v14 offset:13056                  // 00000000859C: D9FE3300 7C00000E
	ds_write_b32 v13, v36                                      // 0000000085A4: D81A0000 0000240D
	v_mfma_f32_16x16x16_f16 v[64:67], a[108:109], a[4:5], v[64:67]// 0000000085AC: D3CD0040 1D02096C
	v_mfma_f32_16x16x16_f16 v[64:67], a[110:111], a[6:7], v[64:67]// 0000000085B4: D3CD0040 1D020D6E
	v_mfma_f32_16x16x16_f16 v[68:71], a[104:105], a[8:9], 0    // 0000000085BC: D3CD0044 1A021168
	ds_read_b128 v[128:131], v14 offset:13568                  // 0000000085C4: D9FE3500 8000000E
	ds_write_b32 v13, v37 offset:1056                          // 0000000085CC: D81A0420 0000250D
	v_mfma_f32_16x16x16_f16 v[68:71], a[106:107], a[10:11], v[68:71]// 0000000085D4: D3CD0044 1D12156A
	buffer_atomic_add_f32 v162, v8, s[32:35], 0 idxen offset:128// 0000000085DC: E1342080 8008A208
	v_mfma_f32_16x16x16_f16 v[68:71], a[108:109], a[12:13], v[68:71]// 0000000085E4: D3CD0044 1D12196C
	v_mfma_f32_16x16x16_f16 v[68:71], a[110:111], a[14:15], v[68:71]// 0000000085EC: D3CD0044 1D121D6E
	ds_read_b128 v[132:135], v14 offset:15232                  // 0000000085F4: D9FE3B80 8400000E
	ds_write_b32 v13, v38 offset:2176                          // 0000000085FC: D81A0880 0000260D
	v_mfma_f32_16x16x16_f16 v[72:75], a[104:105], a[16:17], 0  // 000000008604: D3CD0048 1A022168
	v_mfma_f32_16x16x16_f16 v[72:75], a[106:107], a[18:19], v[72:75]// 00000000860C: D3CD0048 1D22256A
	buffer_atomic_add_f32 v163, v9, s[32:35], 0 idxen offset:128// 000000008614: E1342080 8008A309
	v_mfma_f32_16x16x16_f16 v[72:75], a[108:109], a[20:21], v[72:75]// 00000000861C: D3CD0048 1D22296C
	ds_read_b128 v[136:139], v14 offset:15744                  // 000000008624: D9FE3D80 8800000E
	ds_write_b32 v13, v39 offset:3232                          // 00000000862C: D81A0CA0 0000270D
	v_mfma_f32_16x16x16_f16 v[72:75], a[110:111], a[22:23], v[72:75]// 000000008634: D3CD0048 1D222D6E
	s_cmp_eq_i32 s92, 0                                        // 00000000863C: BF00805C
	s_cbranch_scc1 label_1325                                  // 000000008640: BF8500F0
	s_cmp_lt_i32 s74, 6                                        // 000000008644: BF04864A
	s_cbranch_scc0 label_12AC                                  // 000000008648: BF84007E
	s_lshl_b32 s60, s74, 5                                     // 00000000864C: 8E3C854A
	s_lshl_b32 s61, 0, 4                                       // 000000008650: 8E3D8480
	s_add_i32 s60, s60, s61                                    // 000000008654: 813C3D3C
	v_sub_i32 v32, v232, s60                                   // 000000008658: D29D0020 000079E8
	s_mov_b32 s61, 0                                           // 000000008660: BEBD0080
	v_add_i32 v33, v32, s61                                    // 000000008664: D29C0021 00007B20
	v_cmp_gt_i32_e64 s[88:89], v33, 0                          // 00000000866C: D0C40058 00010121
	v_cmp_gt_i32_e64 s[90:91], v33, 1                          // 000000008674: D0C4005A 00010321
	v_cndmask_b32_e64 v52, v52, v178, s[88:89]                 // 00000000867C: D1000034 01636534
	v_cndmask_b32_e64 v53, v53, v178, s[90:91]                 // 000000008684: D1000035 016B6535
	v_cmp_gt_i32_e64 s[88:89], v33, 2                          // 00000000868C: D0C40058 00010521
	v_cmp_gt_i32_e64 s[90:91], v33, 3                          // 000000008694: D0C4005A 00010721
	v_cndmask_b32_e64 v54, v54, v178, s[88:89]                 // 00000000869C: D1000036 01636536
	v_cndmask_b32_e64 v55, v55, v178, s[90:91]                 // 0000000086A4: D1000037 016B6537
	s_mov_b32 s61, 64                                          // 0000000086AC: BEBD00C0
	v_add_i32 v33, v32, s61                                    // 0000000086B0: D29C0021 00007B20
	v_cmp_gt_i32_e64 s[88:89], v33, 0                          // 0000000086B8: D0C40058 00010121
	v_cmp_gt_i32_e64 s[90:91], v33, 1                          // 0000000086C0: D0C4005A 00010321
	v_cndmask_b32_e64 v56, v56, v178, s[88:89]                 // 0000000086C8: D1000038 01636538
	v_cndmask_b32_e64 v57, v57, v178, s[90:91]                 // 0000000086D0: D1000039 016B6539
	v_cmp_gt_i32_e64 s[88:89], v33, 2                          // 0000000086D8: D0C40058 00010521
	v_cmp_gt_i32_e64 s[90:91], v33, 3                          // 0000000086E0: D0C4005A 00010721
	v_cndmask_b32_e64 v58, v58, v178, s[88:89]                 // 0000000086E8: D100003A 0163653A
	v_cndmask_b32_e64 v59, v59, v178, s[90:91]                 // 0000000086F0: D100003B 016B653B
	s_mov_b32 s61, 0x80                                        // 0000000086F8: BEBD00FF 00000080
	v_add_i32 v33, v32, s61                                    // 000000008700: D29C0021 00007B20
	v_cmp_gt_i32_e64 s[88:89], v33, 0                          // 000000008708: D0C40058 00010121
	v_cmp_gt_i32_e64 s[90:91], v33, 1                          // 000000008710: D0C4005A 00010321
	v_cndmask_b32_e64 v60, v60, v178, s[88:89]                 // 000000008718: D100003C 0163653C
	v_cndmask_b32_e64 v61, v61, v178, s[90:91]                 // 000000008720: D100003D 016B653D
	v_cmp_gt_i32_e64 s[88:89], v33, 2                          // 000000008728: D0C40058 00010521
	v_cmp_gt_i32_e64 s[90:91], v33, 3                          // 000000008730: D0C4005A 00010721
	v_cndmask_b32_e64 v62, v62, v178, s[88:89]                 // 000000008738: D100003E 0163653E
	v_cndmask_b32_e64 v63, v63, v178, s[90:91]                 // 000000008740: D100003F 016B653F
	s_lshl_b32 s60, s74, 5                                     // 000000008748: 8E3C854A
	s_lshl_b32 s61, 1, 4                                       // 00000000874C: 8E3D8481
	s_add_i32 s60, s60, s61                                    // 000000008750: 813C3D3C
	v_sub_i32 v32, v232, s60                                   // 000000008754: D29D0020 000079E8
	s_mov_b32 s61, 0                                           // 00000000875C: BEBD0080
	v_add_i32 v33, v32, s61                                    // 000000008760: D29C0021 00007B20
	v_cmp_gt_i32_e64 s[88:89], v33, 0                          // 000000008768: D0C40058 00010121
	v_cmp_gt_i32_e64 s[90:91], v33, 1                          // 000000008770: D0C4005A 00010321
	v_cndmask_b32_e64 v64, v64, v178, s[88:89]                 // 000000008778: D1000040 01636540
	v_cndmask_b32_e64 v65, v65, v178, s[90:91]                 // 000000008780: D1000041 016B6541
	v_cmp_gt_i32_e64 s[88:89], v33, 2                          // 000000008788: D0C40058 00010521
	v_cmp_gt_i32_e64 s[90:91], v33, 3                          // 000000008790: D0C4005A 00010721
	v_cndmask_b32_e64 v66, v66, v178, s[88:89]                 // 000000008798: D1000042 01636542
	v_cndmask_b32_e64 v67, v67, v178, s[90:91]                 // 0000000087A0: D1000043 016B6543
	s_mov_b32 s61, 64                                          // 0000000087A8: BEBD00C0
	v_add_i32 v33, v32, s61                                    // 0000000087AC: D29C0021 00007B20
	v_cmp_gt_i32_e64 s[88:89], v33, 0                          // 0000000087B4: D0C40058 00010121
	v_cmp_gt_i32_e64 s[90:91], v33, 1                          // 0000000087BC: D0C4005A 00010321
	v_cndmask_b32_e64 v68, v68, v178, s[88:89]                 // 0000000087C4: D1000044 01636544
	v_cndmask_b32_e64 v69, v69, v178, s[90:91]                 // 0000000087CC: D1000045 016B6545
	v_cmp_gt_i32_e64 s[88:89], v33, 2                          // 0000000087D4: D0C40058 00010521
	v_cmp_gt_i32_e64 s[90:91], v33, 3                          // 0000000087DC: D0C4005A 00010721
	v_cndmask_b32_e64 v70, v70, v178, s[88:89]                 // 0000000087E4: D1000046 01636546
	v_cndmask_b32_e64 v71, v71, v178, s[90:91]                 // 0000000087EC: D1000047 016B6547
	s_mov_b32 s61, 0x80                                        // 0000000087F4: BEBD00FF 00000080
	v_add_i32 v33, v32, s61                                    // 0000000087FC: D29C0021 00007B20
	v_cmp_gt_i32_e64 s[88:89], v33, 0                          // 000000008804: D0C40058 00010121
	v_cmp_gt_i32_e64 s[90:91], v33, 1                          // 00000000880C: D0C4005A 00010321
	v_cndmask_b32_e64 v72, v72, v178, s[88:89]                 // 000000008814: D1000048 01636548
	v_cndmask_b32_e64 v73, v73, v178, s[90:91]                 // 00000000881C: D1000049 016B6549
	v_cmp_gt_i32_e64 s[88:89], v33, 2                          // 000000008824: D0C40058 00010521
	v_cmp_gt_i32_e64 s[90:91], v33, 3                          // 00000000882C: D0C4005A 00010721
	v_cndmask_b32_e64 v74, v74, v178, s[88:89]                 // 000000008834: D100004A 0163654A
	v_cndmask_b32_e64 v75, v75, v178, s[90:91]                 // 00000000883C: D100004B 016B654B

0000000000008844 <label_12AC>:
	s_cmp_lt_i32 s101, 0xc0                                    // 000000008844: BF04FF65 000000C0
	s_cbranch_scc0 label_1325                                  // 00000000884C: BF84006D
	s_cmp_le_i32 s101, 64                                      // 000000008850: BF05C065
	s_cbranch_scc1 label_12B8                                  // 000000008854: BF850007
	s_cmp_le_i32 s101, 0x80                                    // 000000008858: BF05FF65 00000080
	s_cbranch_scc1 label_12DC                                  // 000000008860: BF85001F
	s_cmp_lt_i32 s101, 0xc0                                    // 000000008864: BF04FF65 000000C0
	s_cbranch_scc1 label_1300                                  // 00000000886C: BF850040
	s_branch label_1325                                        // 000000008870: BF820064

0000000000008874 <label_12B8>:
	s_mov_b32 s60, 0                                           // 000000008874: BEBC0080
	v_and_b32_e32 v32, 15, v0                                  // 000000008878: 2640008F
	v_add_u32_e64 v32, v32, s60                                // 00000000887C: D1340020 00007920
	v_mul_i32_i24_e64 v33, s46, 16                             // 000000008884: D1060021 0001202E
	v_add_u32_e32 v32, v32, v33                                // 00000000888C: 68404320
	v_cmp_lt_u32_e64 s[60:61], v32, s101                       // 000000008890: D0C9003C 0000CB20
	s_nop 1                                                    // 000000008898: BF800001
	v_cndmask_b32_e64 v52, v178, v52, s[60:61]                 // 00000000889C: D1000034 00F269B2
	v_cndmask_b32_e64 v64, v178, v64, s[60:61]                 // 0000000088A4: D1000040 00F281B2
	v_cndmask_b32_e64 v53, v178, v53, s[60:61]                 // 0000000088AC: D1000035 00F26BB2
	v_cndmask_b32_e64 v65, v178, v65, s[60:61]                 // 0000000088B4: D1000041 00F283B2
	v_cndmask_b32_e64 v54, v178, v54, s[60:61]                 // 0000000088BC: D1000036 00F26DB2
	v_cndmask_b32_e64 v66, v178, v66, s[60:61]                 // 0000000088C4: D1000042 00F285B2
	v_cndmask_b32_e64 v55, v178, v55, s[60:61]                 // 0000000088CC: D1000037 00F26FB2
	v_cndmask_b32_e64 v67, v178, v67, s[60:61]                 // 0000000088D4: D1000043 00F287B2
	s_branch label_12F7                                        // 0000000088DC: BF82001B

00000000000088e0 <label_12DC>:
	s_mov_b32 s60, 64                                          // 0000000088E0: BEBC00C0
	v_and_b32_e32 v32, 15, v0                                  // 0000000088E4: 2640008F
	v_add_u32_e64 v32, v32, s60                                // 0000000088E8: D1340020 00007920
	v_mul_i32_i24_e64 v33, s46, 16                             // 0000000088F0: D1060021 0001202E
	v_add_u32_e32 v32, v32, v33                                // 0000000088F8: 68404320
	v_cmp_lt_u32_e64 s[60:61], v32, s101                       // 0000000088FC: D0C9003C 0000CB20
	s_nop 1                                                    // 000000008904: BF800001
	v_cndmask_b32_e64 v56, v178, v56, s[60:61]                 // 000000008908: D1000038 00F271B2
	v_cndmask_b32_e64 v68, v178, v68, s[60:61]                 // 000000008910: D1000044 00F289B2
	v_cndmask_b32_e64 v57, v178, v57, s[60:61]                 // 000000008918: D1000039 00F273B2
	v_cndmask_b32_e64 v69, v178, v69, s[60:61]                 // 000000008920: D1000045 00F28BB2
	v_cndmask_b32_e64 v58, v178, v58, s[60:61]                 // 000000008928: D100003A 00F275B2
	v_cndmask_b32_e64 v70, v178, v70, s[60:61]                 // 000000008930: D1000046 00F28DB2
	v_cndmask_b32_e64 v59, v178, v59, s[60:61]                 // 000000008938: D100003B 00F277B2
	v_cndmask_b32_e64 v71, v178, v71, s[60:61]                 // 000000008940: D1000047 00F28FB2
	s_branch label_131C                                        // 000000008948: BF820025

000000000000894c <label_12F7>:
	v_mov_b32_e32 v56, v178                                    // 00000000894C: 7E7003B2
	v_mov_b32_e32 v68, v178                                    // 000000008950: 7E8803B2
	v_mov_b32_e32 v57, v178                                    // 000000008954: 7E7203B2
	v_mov_b32_e32 v69, v178                                    // 000000008958: 7E8A03B2
	v_mov_b32_e32 v58, v178                                    // 00000000895C: 7E7403B2
	v_mov_b32_e32 v70, v178                                    // 000000008960: 7E8C03B2
	v_mov_b32_e32 v59, v178                                    // 000000008964: 7E7603B2
	v_mov_b32_e32 v71, v178                                    // 000000008968: 7E8E03B2
	s_branch label_131C                                        // 00000000896C: BF82001C

0000000000008970 <label_1300>:
	s_mov_b32 s60, 0x80                                        // 000000008970: BEBC00FF 00000080
	v_and_b32_e32 v32, 15, v0                                  // 000000008978: 2640008F
	v_add_u32_e64 v32, v32, s60                                // 00000000897C: D1340020 00007920
	v_mul_i32_i24_e64 v33, s46, 16                             // 000000008984: D1060021 0001202E
	v_add_u32_e32 v32, v32, v33                                // 00000000898C: 68404320
	v_cmp_lt_u32_e64 s[60:61], v32, s101                       // 000000008990: D0C9003C 0000CB20
	s_nop 1                                                    // 000000008998: BF800001
	v_cndmask_b32_e64 v60, v178, v60, s[60:61]                 // 00000000899C: D100003C 00F279B2
	v_cndmask_b32_e64 v72, v178, v72, s[60:61]                 // 0000000089A4: D1000048 00F291B2
	v_cndmask_b32_e64 v61, v178, v61, s[60:61]                 // 0000000089AC: D100003D 00F27BB2
	v_cndmask_b32_e64 v73, v178, v73, s[60:61]                 // 0000000089B4: D1000049 00F293B2
	v_cndmask_b32_e64 v62, v178, v62, s[60:61]                 // 0000000089BC: D100003E 00F27DB2
	v_cndmask_b32_e64 v74, v178, v74, s[60:61]                 // 0000000089C4: D100004A 00F295B2
	v_cndmask_b32_e64 v63, v178, v63, s[60:61]                 // 0000000089CC: D100003F 00F27FB2
	v_cndmask_b32_e64 v75, v178, v75, s[60:61]                 // 0000000089D4: D100004B 00F297B2
	s_branch label_1325                                        // 0000000089DC: BF820009

00000000000089e0 <label_131C>:
	v_mov_b32_e32 v60, v178                                    // 0000000089E0: 7E7803B2
	v_mov_b32_e32 v72, v178                                    // 0000000089E4: 7E9003B2
	v_mov_b32_e32 v61, v178                                    // 0000000089E8: 7E7A03B2
	v_mov_b32_e32 v73, v178                                    // 0000000089EC: 7E9203B2
	v_mov_b32_e32 v62, v178                                    // 0000000089F0: 7E7C03B2
	v_mov_b32_e32 v74, v178                                    // 0000000089F4: 7E9403B2
	v_mov_b32_e32 v63, v178                                    // 0000000089F8: 7E7E03B2
	v_mov_b32_e32 v75, v178                                    // 0000000089FC: 7E9603B2
	s_branch label_1325                                        // 000000008A00: BF820000

0000000000008a04 <label_1325>:
	s_addk_i32 s74, 0x1                                        // 000000008A04: B74A0001
	s_waitcnt lgkmcnt(8)                                       // 000000008A08: BF8CC87F
	s_barrier                                                  // 000000008A0C: BF8A0000
	v_mfma_f32_16x16x16_f16 v[76:79], v[108:109], a[72:73], 0  // 000000008A10: D3CD004C 1202916C
	v_fma_f32 v52, v52, s57, -v140                             // 000000008A18: D1CB0034 86307334
	v_fma_f32 v53, v53, s57, -v141                             // 000000008A20: D1CB0035 86347335
	v_fma_f32 v54, v54, s57, -v142                             // 000000008A28: D1CB0036 86387336
	v_fma_f32 v55, v55, s57, -v143                             // 000000008A30: D1CB0037 863C7337
	v_fma_f32 v56, v56, s57, -v140                             // 000000008A38: D1CB0038 86307338
	v_fma_f32 v57, v57, s57, -v141                             // 000000008A40: D1CB0039 86347339
	v_mfma_f32_16x16x16_f16 v[76:79], v[110:111], a[74:75], v[76:79]// 000000008A48: D3CD004C 1532956E
	ds_read_b128 a[96:99], v14 offset:4352                     // 000000008A50: DBFE1100 6000000E
	ds_read_b128 a[100:103], v14 offset:4864                   // 000000008A58: DBFE1300 6400000E
	v_mfma_f32_16x16x16_f16 v[76:79], v[112:113], a[76:77], v[76:79]// 000000008A60: D3CD004C 15329970
	v_fma_f32 v58, v58, s57, -v142                             // 000000008A68: D1CB003A 8638733A
	v_fma_f32 v59, v59, s57, -v143                             // 000000008A70: D1CB003B 863C733B
	v_fma_f32 v60, v60, s57, -v140                             // 000000008A78: D1CB003C 8630733C
	v_fma_f32 v61, v61, s57, -v141                             // 000000008A80: D1CB003D 8634733D
	v_fma_f32 v62, v62, s57, -v142                             // 000000008A88: D1CB003E 8638733E
	v_fma_f32 v63, v63, s57, -v143                             // 000000008A90: D1CB003F 863C733F
	v_mfma_f32_16x16x16_f16 v[76:79], v[114:115], a[78:79], v[76:79]// 000000008A98: D3CD004C 15329D72
	v_fma_f32 v64, v64, s57, -v144                             // 000000008AA0: D1CB0040 86407340
	v_fma_f32 v65, v65, s57, -v145                             // 000000008AA8: D1CB0041 86447341
	v_fma_f32 v66, v66, s57, -v146                             // 000000008AB0: D1CB0042 86487342
	v_fma_f32 v67, v67, s57, -v147                             // 000000008AB8: D1CB0043 864C7343
	v_fma_f32 v68, v68, s57, -v144                             // 000000008AC0: D1CB0044 86407344
	v_fma_f32 v69, v69, s57, -v145                             // 000000008AC8: D1CB0045 86447345
	v_mfma_f32_16x16x16_f16 v[80:83], v[108:109], a[80:81], 0  // 000000008AD0: D3CD0050 1202A16C
	v_fma_f32 v70, v70, s57, -v146                             // 000000008AD8: D1CB0046 86487346
	v_fma_f32 v71, v71, s57, -v147                             // 000000008AE0: D1CB0047 864C7347
	v_fma_f32 v72, v72, s57, -v144                             // 000000008AE8: D1CB0048 86407348
	v_fma_f32 v73, v73, s57, -v145                             // 000000008AF0: D1CB0049 86447349
	v_fma_f32 v74, v74, s57, -v146                             // 000000008AF8: D1CB004A 8648734A
	v_fma_f32 v75, v75, s57, -v147                             // 000000008B00: D1CB004B 864C734B
	v_mfma_f32_16x16x16_f16 v[80:83], v[110:111], a[82:83], v[80:83]// 000000008B08: D3CD0050 1542A56E
	ds_read_b128 a[104:107], v14 offset:6528                   // 000000008B10: DBFE1980 6800000E
	ds_read_b128 a[108:111], v14 offset:7040                   // 000000008B18: DBFE1B80 6C00000E
	v_mfma_f32_16x16x16_f16 v[80:83], v[112:113], a[84:85], v[80:83]// 000000008B20: D3CD0050 1542A970
	v_exp_f32_e32 v52, v52                                     // 000000008B28: 7E684134
	v_exp_f32_e32 v53, v53                                     // 000000008B2C: 7E6A4135
	v_mfma_f32_16x16x16_f16 v[80:83], v[114:115], a[86:87], v[80:83]// 000000008B30: D3CD0050 1542AD72
	v_exp_f32_e32 v54, v54                                     // 000000008B38: 7E6C4136
	v_exp_f32_e32 v55, v55                                     // 000000008B3C: 7E6E4137
	v_mfma_f32_16x16x16_f16 v[84:87], v[108:109], a[88:89], 0  // 000000008B40: D3CD0054 1202B16C
	v_exp_f32_e32 v56, v56                                     // 000000008B48: 7E704138
	v_exp_f32_e32 v57, v57                                     // 000000008B4C: 7E724139
	v_mfma_f32_16x16x16_f16 v[84:87], v[110:111], a[90:91], v[84:87]// 000000008B50: D3CD0054 1552B56E
	ds_read_b64 v[156:157], v21 offset:31232                   // 000000008B58: D8EC7A00 9C000015
	ds_read_b64 v[158:159], v21 offset:33280                   // 000000008B60: D8EC8200 9E000015
	v_mfma_f32_16x16x16_f16 v[84:87], v[112:113], a[92:93], v[84:87]// 000000008B68: D3CD0054 1552B970
	v_exp_f32_e32 v58, v58                                     // 000000008B70: 7E74413A
	v_exp_f32_e32 v59, v59                                     // 000000008B74: 7E76413B
	v_mfma_f32_16x16x16_f16 v[84:87], v[114:115], a[94:95], v[84:87]// 000000008B78: D3CD0054 1552BD72
	ds_read_b64 v[160:161], v21 offset:35328                   // 000000008B80: D8EC8A00 A0000015
	ds_read_b64 v[162:163], v21 offset:37376                   // 000000008B88: D8EC9200 A2000015
	v_mfma_f32_16x16x16_f16 v[88:91], v[116:117], a[72:73], 0  // 000000008B90: D3CD0058 12029174
	v_exp_f32_e32 v60, v60                                     // 000000008B98: 7E78413C
	v_exp_f32_e32 v61, v61                                     // 000000008B9C: 7E7A413D
	v_mfma_f32_16x16x16_f16 v[88:91], v[118:119], a[74:75], v[88:91]// 000000008BA0: D3CD0058 15629576
	v_exp_f32_e32 v62, v62                                     // 000000008BA8: 7E7C413E
	v_exp_f32_e32 v63, v63                                     // 000000008BAC: 7E7E413F
	v_mfma_f32_16x16x16_f16 v[88:91], v[120:121], a[76:77], v[88:91]// 000000008BB0: D3CD0058 15629978
	v_exp_f32_e32 v64, v64                                     // 000000008BB8: 7E804140
	v_exp_f32_e32 v65, v65                                     // 000000008BBC: 7E824141
	v_mfma_f32_16x16x16_f16 v[88:91], v[122:123], a[78:79], v[88:91]// 000000008BC0: D3CD0058 15629D7A
	v_exp_f32_e32 v66, v66                                     // 000000008BC8: 7E844142
	v_exp_f32_e32 v67, v67                                     // 000000008BCC: 7E864143
	v_mfma_f32_16x16x16_f16 v[92:95], v[116:117], a[80:81], 0  // 000000008BD0: D3CD005C 1202A174
	v_exp_f32_e32 v68, v68                                     // 000000008BD8: 7E884144
	v_exp_f32_e32 v69, v69                                     // 000000008BDC: 7E8A4145
	v_mfma_f32_16x16x16_f16 v[92:95], v[118:119], a[82:83], v[92:95]// 000000008BE0: D3CD005C 1572A576
	v_exp_f32_e32 v70, v70                                     // 000000008BE8: 7E8C4146
	v_exp_f32_e32 v71, v71                                     // 000000008BEC: 7E8E4147
	v_mfma_f32_16x16x16_f16 v[92:95], v[120:121], a[84:85], v[92:95]// 000000008BF0: D3CD005C 1572A978
	v_exp_f32_e32 v72, v72                                     // 000000008BF8: 7E904148
	v_exp_f32_e32 v73, v73                                     // 000000008BFC: 7E924149
	v_mfma_f32_16x16x16_f16 v[92:95], v[122:123], a[86:87], v[92:95]// 000000008C00: D3CD005C 1572AD7A
	v_exp_f32_e32 v74, v74                                     // 000000008C08: 7E94414A
	v_exp_f32_e32 v75, v75                                     // 000000008C0C: 7E96414B
	v_mfma_f32_16x16x16_f16 v[96:99], v[116:117], a[88:89], 0  // 000000008C10: D3CD0060 1202B174
	v_cvt_pkrtz_f16_f32 v164, v52, v53                         // 000000008C18: D29600A4 00026B34
	v_cvt_pkrtz_f16_f32 v165, v54, v55                         // 000000008C20: D29600A5 00026F36
	v_cvt_pkrtz_f16_f32 v166, v56, v57                         // 000000008C28: D29600A6 00027338
	v_cvt_pkrtz_f16_f32 v167, v58, v59                         // 000000008C30: D29600A7 0002773A
	v_cvt_pkrtz_f16_f32 v168, v60, v61                         // 000000008C38: D29600A8 00027B3C
	v_cvt_pkrtz_f16_f32 v169, v62, v63                         // 000000008C40: D29600A9 00027F3E
	v_mfma_f32_16x16x16_f16 v[96:99], v[118:119], a[90:91], v[96:99]// 000000008C48: D3CD0060 1582B576
	v_cvt_pkrtz_f16_f32 v170, v64, v65                         // 000000008C50: D29600AA 00028340
	v_cvt_pkrtz_f16_f32 v171, v66, v67                         // 000000008C58: D29600AB 00028742
	v_cvt_pkrtz_f16_f32 v172, v68, v69                         // 000000008C60: D29600AC 00028B44
	v_cvt_pkrtz_f16_f32 v173, v70, v71                         // 000000008C68: D29600AD 00028F46
	v_cvt_pkrtz_f16_f32 v174, v72, v73                         // 000000008C70: D29600AE 00029348
	v_cvt_pkrtz_f16_f32 v175, v74, v75                         // 000000008C78: D29600AF 0002974A
	v_mfma_f32_16x16x16_f16 v[96:99], v[120:121], a[92:93], v[96:99]// 000000008C80: D3CD0060 1582B978
	v_add_u32_e32 v6, s66, v6                                  // 000000008C88: 680C0C42
	v_add_u32_e32 v7, s66, v7                                  // 000000008C8C: 680E0E42
	v_add_u32_e32 v8, s66, v8                                  // 000000008C90: 68101042
	v_add_u32_e32 v9, s66, v9                                  // 000000008C94: 68121242
	v_mfma_f32_16x16x16_f16 v[96:99], v[122:123], a[94:95], v[96:99]// 000000008C98: D3CD0060 1582BD7A
	s_waitcnt lgkmcnt(0)                                       // 000000008CA0: BF8CC07F
	s_barrier                                                  // 000000008CA4: BF8A0000
	v_mfma_f32_16x16x16_f16 v[180:183], v[124:125], v[164:165], v[180:183]// 000000008CA8: D3CD00B4 06D3497C
	v_subrev_f32_dpp v76, v176, v76 quad_perm:[0,0,0,0] row_mask:0xf bank_mask:0xf// 000000008CB0: 069898FA FF0000B0
	v_subrev_f32_dpp v77, v176, v77 quad_perm:[1,1,1,1] row_mask:0xf bank_mask:0xf// 000000008CB8: 069A9AFA FF0055B0
	v_subrev_f32_dpp v78, v176, v78 quad_perm:[2,2,2,2] row_mask:0xf bank_mask:0xf// 000000008CC0: 069C9CFA FF00AAB0
	v_subrev_f32_dpp v79, v176, v79 quad_perm:[3,3,3,3] row_mask:0xf bank_mask:0xf// 000000008CC8: 069E9EFA FF00FFB0
	v_subrev_f32_dpp v80, v176, v80 quad_perm:[0,0,0,0] row_mask:0xf bank_mask:0xf// 000000008CD0: 06A0A0FA FF0000B0
	v_subrev_f32_dpp v81, v176, v81 quad_perm:[1,1,1,1] row_mask:0xf bank_mask:0xf// 000000008CD8: 06A2A2FA FF0055B0
	v_mfma_f32_16x16x16_f16 v[184:187], v[126:127], v[164:165], v[184:187]// 000000008CE0: D3CD00B8 06E3497E
	v_subrev_f32_dpp v82, v176, v82 quad_perm:[2,2,2,2] row_mask:0xf bank_mask:0xf// 000000008CE8: 06A4A4FA FF00AAB0
	v_subrev_f32_dpp v83, v176, v83 quad_perm:[3,3,3,3] row_mask:0xf bank_mask:0xf// 000000008CF0: 06A6A6FA FF00FFB0
	v_subrev_f32_dpp v84, v176, v84 quad_perm:[0,0,0,0] row_mask:0xf bank_mask:0xf// 000000008CF8: 06A8A8FA FF0000B0
	v_subrev_f32_dpp v85, v176, v85 quad_perm:[1,1,1,1] row_mask:0xf bank_mask:0xf// 000000008D00: 06AAAAFA FF0055B0
	v_subrev_f32_dpp v86, v176, v86 quad_perm:[2,2,2,2] row_mask:0xf bank_mask:0xf// 000000008D08: 06ACACFA FF00AAB0
	v_subrev_f32_dpp v87, v176, v87 quad_perm:[3,3,3,3] row_mask:0xf bank_mask:0xf// 000000008D10: 06AEAEFA FF00FFB0
	v_mfma_f32_16x16x16_f16 v[188:191], v[128:129], v[164:165], v[188:191]// 000000008D18: D3CD00BC 06F34980
	v_mul_f32_e32 v76, v52, v76                                // 000000008D20: 0A989934
	v_mul_f32_e32 v77, v53, v77                                // 000000008D24: 0A9A9B35
	v_mul_f32_e32 v78, v54, v78                                // 000000008D28: 0A9C9D36
	v_mul_f32_e32 v79, v55, v79                                // 000000008D2C: 0A9E9F37
	v_mul_f32_e32 v80, v56, v80                                // 000000008D30: 0AA0A138
	v_mul_f32_e32 v81, v57, v81                                // 000000008D34: 0AA2A339
	v_mfma_f32_16x16x16_f16 v[192:195], v[130:131], v[164:165], v[192:195]// 000000008D38: D3CD00C0 07034982
	v_mul_f32_e32 v82, v58, v82                                // 000000008D40: 0AA4A53A
	v_mul_f32_e32 v83, v59, v83                                // 000000008D44: 0AA6A73B
	v_mul_f32_e32 v84, v60, v84                                // 000000008D48: 0AA8A93C
	v_mul_f32_e32 v85, v61, v85                                // 000000008D4C: 0AAAAB3D
	v_mul_f32_e32 v86, v62, v86                                // 000000008D50: 0AACAD3E
	v_mul_f32_e32 v87, v63, v87                                // 000000008D54: 0AAEAF3F
	v_mfma_f32_16x16x16_f16 v[196:199], v[124:125], v[166:167], v[196:199]// 000000008D58: D3CD00C4 07134D7C
	v_cvt_pkrtz_f16_f32 v76, v76, v77                          // 000000008D60: D296004C 00029B4C
	v_cvt_pkrtz_f16_f32 v77, v78, v79                          // 000000008D68: D296004D 00029F4E
	v_cvt_pkrtz_f16_f32 v78, v80, v81                          // 000000008D70: D296004E 0002A350
	v_cvt_pkrtz_f16_f32 v79, v82, v83                          // 000000008D78: D296004F 0002A752
	v_cvt_pkrtz_f16_f32 v80, v84, v85                          // 000000008D80: D2960050 0002AB54
	v_cvt_pkrtz_f16_f32 v81, v86, v87                          // 000000008D88: D2960051 0002AF56
	v_mfma_f32_16x16x16_f16 v[200:203], v[126:127], v[166:167], v[200:203]// 000000008D90: D3CD00C8 07234D7E
	v_mov_b32_dpp v18, v76 quad_perm:[1,0,3,2] row_mask:0xf bank_mask:0xf// 000000008D98: 7E2402FA FF00B14C
	v_perm_b32 v52, v18, v76, v17                              // 000000008DA0: D1ED0034 04469912
	v_mov_b32_dpp v18, v77 quad_perm:[1,0,3,2] row_mask:0xf bank_mask:0xf// 000000008DA8: 7E2402FA FF00B14D
	v_perm_b32 v53, v18, v77, v17                              // 000000008DB0: D1ED0035 04469B12
	v_mov_b32_dpp v18, v78 quad_perm:[1,0,3,2] row_mask:0xf bank_mask:0xf// 000000008DB8: 7E2402FA FF00B14E
	v_perm_b32 v54, v18, v78, v17                              // 000000008DC0: D1ED0036 04469D12
	v_mfma_f32_16x16x16_f16 v[204:207], v[128:129], v[166:167], v[204:207]// 000000008DC8: D3CD00CC 07334D80
	ds_write_b32 v20, v52 offset:17408                         // 000000008DD0: D81A4400 00003414
	ds_write_b32 v20, v53 offset:17952                         // 000000008DD8: D81A4620 00003514
	v_mfma_f32_16x16x16_f16 v[208:211], v[130:131], v[166:167], v[208:211]// 000000008DE0: D3CD00D0 07434D82
	v_mov_b32_dpp v18, v79 quad_perm:[1,0,3,2] row_mask:0xf bank_mask:0xf// 000000008DE8: 7E2402FA FF00B14F
	v_perm_b32 v55, v18, v79, v17                              // 000000008DF0: D1ED0037 04469F12
	v_mov_b32_dpp v18, v80 quad_perm:[1,0,3,2] row_mask:0xf bank_mask:0xf// 000000008DF8: 7E2402FA FF00B150
	v_perm_b32 v56, v18, v80, v17                              // 000000008E00: D1ED0038 0446A112
	v_mov_b32_dpp v18, v81 quad_perm:[1,0,3,2] row_mask:0xf bank_mask:0xf// 000000008E08: 7E2402FA FF00B151
	v_perm_b32 v57, v18, v81, v17                              // 000000008E10: D1ED0039 0446A312
	v_mfma_f32_16x16x16_f16 v[212:215], v[124:125], v[168:169], v[212:215]// 000000008E18: D3CD00D4 0753517C
	ds_write_b32 v20, v54 offset:19712                         // 000000008E20: D81A4D00 00003614
	ds_write_b32 v20, v55 offset:20256                         // 000000008E28: D81A4F20 00003714
	v_mfma_f32_16x16x16_f16 v[216:219], v[126:127], v[168:169], v[216:219]// 000000008E30: D3CD00D8 0763517E
	v_subrev_f32_dpp v88, v177, v88 quad_perm:[0,0,0,0] row_mask:0xf bank_mask:0xf// 000000008E38: 06B0B0FA FF0000B1
	v_subrev_f32_dpp v89, v177, v89 quad_perm:[1,1,1,1] row_mask:0xf bank_mask:0xf// 000000008E40: 06B2B2FA FF0055B1
	v_subrev_f32_dpp v90, v177, v90 quad_perm:[2,2,2,2] row_mask:0xf bank_mask:0xf// 000000008E48: 06B4B4FA FF00AAB1
	v_subrev_f32_dpp v91, v177, v91 quad_perm:[3,3,3,3] row_mask:0xf bank_mask:0xf// 000000008E50: 06B6B6FA FF00FFB1
	v_subrev_f32_dpp v92, v177, v92 quad_perm:[0,0,0,0] row_mask:0xf bank_mask:0xf// 000000008E58: 06B8B8FA FF0000B1
	v_subrev_f32_dpp v93, v177, v93 quad_perm:[1,1,1,1] row_mask:0xf bank_mask:0xf// 000000008E60: 06BABAFA FF0055B1
	v_mfma_f32_16x16x16_f16 v[220:223], v[128:129], v[168:169], v[220:223]// 000000008E68: D3CD00DC 07735180
	ds_write_b32 v20, v56 offset:22016                         // 000000008E70: D81A5600 00003814
	ds_write_b32 v20, v57 offset:22560                         // 000000008E78: D81A5820 00003914
	v_mfma_f32_16x16x16_f16 v[224:227], v[130:131], v[168:169], v[224:227]// 000000008E80: D3CD00E0 07835182
	v_subrev_f32_dpp v94, v177, v94 quad_perm:[2,2,2,2] row_mask:0xf bank_mask:0xf// 000000008E88: 06BCBCFA FF00AAB1
	v_subrev_f32_dpp v95, v177, v95 quad_perm:[3,3,3,3] row_mask:0xf bank_mask:0xf// 000000008E90: 06BEBEFA FF00FFB1
	v_subrev_f32_dpp v96, v177, v96 quad_perm:[0,0,0,0] row_mask:0xf bank_mask:0xf// 000000008E98: 06C0C0FA FF0000B1
	v_subrev_f32_dpp v97, v177, v97 quad_perm:[1,1,1,1] row_mask:0xf bank_mask:0xf// 000000008EA0: 06C2C2FA FF0055B1
	v_subrev_f32_dpp v98, v177, v98 quad_perm:[2,2,2,2] row_mask:0xf bank_mask:0xf// 000000008EA8: 06C4C4FA FF00AAB1
	v_subrev_f32_dpp v99, v177, v99 quad_perm:[3,3,3,3] row_mask:0xf bank_mask:0xf// 000000008EB0: 06C6C6FA FF00FFB1
	v_mfma_f32_16x16x16_f16 v[180:183], v[132:133], v[170:171], v[180:183]// 000000008EB8: D3CD00B4 06D35584
	v_mul_f32_e32 v88, v64, v88                                // 000000008EC0: 0AB0B140
	v_mul_f32_e32 v89, v65, v89                                // 000000008EC4: 0AB2B341
	v_mul_f32_e32 v90, v66, v90                                // 000000008EC8: 0AB4B542
	v_mul_f32_e32 v91, v67, v91                                // 000000008ECC: 0AB6B743
	v_mul_f32_e32 v92, v68, v92                                // 000000008ED0: 0AB8B944
	v_mul_f32_e32 v93, v69, v93                                // 000000008ED4: 0ABABB45
	v_mfma_f32_16x16x16_f16 v[184:187], v[134:135], v[170:171], v[184:187]// 000000008ED8: D3CD00B8 06E35586
	v_mul_f32_e32 v94, v70, v94                                // 000000008EE0: 0ABCBD46
	v_mul_f32_e32 v95, v71, v95                                // 000000008EE4: 0ABEBF47
	v_mul_f32_e32 v96, v72, v96                                // 000000008EE8: 0AC0C148
	v_mul_f32_e32 v97, v73, v97                                // 000000008EEC: 0AC2C349
	v_mul_f32_e32 v98, v74, v98                                // 000000008EF0: 0AC4C54A
	v_mul_f32_e32 v99, v75, v99                                // 000000008EF4: 0AC6C74B
	v_mfma_f32_16x16x16_f16 v[188:191], v[136:137], v[170:171], v[188:191]// 000000008EF8: D3CD00BC 06F35588
	v_cvt_pkrtz_f16_f32 v82, v88, v89                          // 000000008F00: D2960052 0002B358
	v_cvt_pkrtz_f16_f32 v83, v90, v91                          // 000000008F08: D2960053 0002B75A
	v_cvt_pkrtz_f16_f32 v84, v92, v93                          // 000000008F10: D2960054 0002BB5C
	v_cvt_pkrtz_f16_f32 v85, v94, v95                          // 000000008F18: D2960055 0002BF5E
	v_cvt_pkrtz_f16_f32 v86, v96, v97                          // 000000008F20: D2960056 0002C360
	v_cvt_pkrtz_f16_f32 v87, v98, v99                          // 000000008F28: D2960057 0002C762
	v_mfma_f32_16x16x16_f16 v[192:195], v[138:139], v[170:171], v[192:195]// 000000008F30: D3CD00C0 0703558A
	v_mov_b32_dpp v18, v82 quad_perm:[1,0,3,2] row_mask:0xf bank_mask:0xf// 000000008F38: 7E2402FA FF00B152
	v_perm_b32 v58, v18, v82, v17                              // 000000008F40: D1ED003A 0446A512
	v_mov_b32_dpp v18, v83 quad_perm:[1,0,3,2] row_mask:0xf bank_mask:0xf// 000000008F48: 7E2402FA FF00B153
	v_perm_b32 v59, v18, v83, v17                              // 000000008F50: D1ED003B 0446A712
	v_mov_b32_dpp v18, v84 quad_perm:[1,0,3,2] row_mask:0xf bank_mask:0xf// 000000008F58: 7E2402FA FF00B154
	v_perm_b32 v60, v18, v84, v17                              // 000000008F60: D1ED003C 0446A912
	v_mfma_f32_16x16x16_f16 v[196:199], v[132:133], v[172:173], v[196:199]// 000000008F68: D3CD00C4 07135984
	ds_write_b32 v20, v58 offset:24320                         // 000000008F70: D81A5F00 00003A14
	ds_write_b32 v20, v59 offset:24864                         // 000000008F78: D81A6120 00003B14
	v_mfma_f32_16x16x16_f16 v[200:203], v[134:135], v[172:173], v[200:203]// 000000008F80: D3CD00C8 07235986
	v_mov_b32_dpp v18, v85 quad_perm:[1,0,3,2] row_mask:0xf bank_mask:0xf// 000000008F88: 7E2402FA FF00B155
	v_perm_b32 v61, v18, v85, v17                              // 000000008F90: D1ED003D 0446AB12
	v_mov_b32_dpp v18, v86 quad_perm:[1,0,3,2] row_mask:0xf bank_mask:0xf// 000000008F98: 7E2402FA FF00B156
	v_perm_b32 v62, v18, v86, v17                              // 000000008FA0: D1ED003E 0446AD12
	v_mov_b32_dpp v18, v87 quad_perm:[1,0,3,2] row_mask:0xf bank_mask:0xf// 000000008FA8: 7E2402FA FF00B157
	v_perm_b32 v63, v18, v87, v17                              // 000000008FB0: D1ED003F 0446AF12
	v_mfma_f32_16x16x16_f16 v[204:207], v[136:137], v[172:173], v[204:207]// 000000008FB8: D3CD00CC 07335988
	ds_write_b32 v20, v60 offset:26624                         // 000000008FC0: D81A6800 00003C14
	ds_write_b32 v20, v61 offset:27168                         // 000000008FC8: D81A6A20 00003D14
	ds_write_b32 v20, v62 offset:28928                         // 000000008FD0: D81A7100 00003E14
	ds_write_b32 v20, v63 offset:29472                         // 000000008FD8: D81A7320 00003F14
	v_mfma_f32_16x16x16_f16 v[208:211], v[138:139], v[172:173], v[208:211]// 000000008FE0: D3CD00D0 0743598A
	v_mfma_f32_16x16x16_f16 v[212:215], v[132:133], v[174:175], v[212:215]// 000000008FE8: D3CD00D4 07535D84
	ds_write_b32 v15, v100 offset:4352                         // 000000008FF0: D81A1100 0000640F
	ds_write_b32 v15, v101 offset:5408                         // 000000008FF8: D81A1520 0000650F
	v_mfma_f32_16x16x16_f16 v[216:219], v[134:135], v[174:175], v[216:219]// 000000009000: D3CD00D8 07635D86
	v_mfma_f32_16x16x16_f16 v[220:223], v[136:137], v[174:175], v[220:223]// 000000009008: D3CD00DC 07735D88
	ds_write_b32 v15, v102 offset:6528                         // 000000009010: D81A1980 0000660F
	ds_write_b32 v15, v103 offset:7584                         // 000000009018: D81A1DA0 0000670F
	v_mfma_f32_16x16x16_f16 v[224:227], v[138:139], v[174:175], v[224:227]// 000000009020: D3CD00E0 07835D8A
	s_nop 0                                                    // 000000009028: BF800000
	s_nop 0                                                    // 00000000902C: BF800000
	s_nop 0                                                    // 000000009030: BF800000
	s_barrier                                                  // 000000009034: BF8A0000
	v_mfma_f32_16x16x16_f16 a[112:115], a[96:97], v[76:77], a[112:115]// 000000009038: D3CD8070 0DC29960
	ds_read_b32 v140, v23 offset:39424                         // 000000009040: D86C9A00 8C000017
	ds_read_b32 v144, v23 offset:39488                         // 000000009048: D86C9A40 90000017
	ds_read_b32 v176, v23 offset:39680                         // 000000009050: D86C9B00 B0000017
	ds_read_b32 v177, v23 offset:39744                         // 000000009058: D86C9B40 B1000017
	v_mfma_f32_16x16x16_f16 a[116:119], a[98:99], v[76:77], a[116:119]// 000000009060: D3CD8074 0DD29962
	buffer_atomic_add_f32 v156, v6, s[32:35], 0 idxen          // 000000009068: E1342000 80089C06
	v_mfma_f32_16x16x16_f16 a[120:123], a[100:101], v[76:77], a[120:123]// 000000009070: D3CD8078 0DE29964
	s_waitcnt lgkmcnt(8)                                       // 000000009078: BF8CC87F
	s_barrier                                                  // 00000000907C: BF8A0000
	v_mfma_f32_16x16x16_f16 a[124:127], a[102:103], v[76:77], a[124:127]// 000000009080: D3CD807C 0DF29966
	v_mfma_f32_16x16x16_f16 a[128:131], a[96:97], v[78:79], a[128:131]// 000000009088: D3CD8080 0E029D60
	ds_read_b128 v[52:55], v19 offset:17408                    // 000000009090: D9FE4400 34000013
	v_mfma_f32_16x16x16_f16 a[132:135], a[98:99], v[78:79], a[132:135]// 000000009098: D3CD8084 0E129D62
	v_mfma_f32_16x16x16_f16 a[136:139], a[100:101], v[78:79], a[136:139]// 0000000090A0: D3CD8088 0E229D64
	ds_read_b128 v[56:59], v19 offset:18560                    // 0000000090A8: D9FE4880 38000013
	v_mfma_f32_16x16x16_f16 a[140:143], a[102:103], v[78:79], a[140:143]// 0000000090B0: D3CD808C 0E329D66
	buffer_atomic_add_f32 v157, v7, s[32:35], 0 idxen          // 0000000090B8: E1342000 80089D07
	v_mfma_f32_16x16x16_f16 a[144:147], a[96:97], v[80:81], a[144:147]// 0000000090C0: D3CD8090 0E42A160
	ds_read_b128 v[60:63], v19 offset:19712                    // 0000000090C8: D9FE4D00 3C000013
	v_mfma_f32_16x16x16_f16 a[148:151], a[98:99], v[80:81], a[148:151]// 0000000090D0: D3CD8094 0E52A162
	v_mfma_f32_16x16x16_f16 a[152:155], a[100:101], v[80:81], a[152:155]// 0000000090D8: D3CD8098 0E62A164
	ds_read_b128 v[64:67], v19 offset:20864                    // 0000000090E0: D9FE5180 40000013
	v_mfma_f32_16x16x16_f16 a[156:159], a[102:103], v[80:81], a[156:159]// 0000000090E8: D3CD809C 0E72A166
	v_mfma_f32_16x16x16_f16 a[112:115], a[104:105], v[82:83], a[112:115]// 0000000090F0: D3CD8070 0DC2A568
	ds_read_b128 v[68:71], v19 offset:22016                    // 0000000090F8: D9FE5600 44000013
	v_mfma_f32_16x16x16_f16 a[116:119], a[106:107], v[82:83], a[116:119]// 000000009100: D3CD8074 0DD2A56A
	buffer_atomic_add_f32 v158, v6, s[32:35], 0 idxen offset:128// 000000009108: E1342080 80089E06
	v_mfma_f32_16x16x16_f16 a[120:123], a[108:109], v[82:83], a[120:123]// 000000009110: D3CD8078 0DE2A56C
	ds_read_b128 v[72:75], v19 offset:23168                    // 000000009118: D9FE5A80 48000013
	v_mfma_f32_16x16x16_f16 a[124:127], a[110:111], v[82:83], a[124:127]// 000000009120: D3CD807C 0DF2A56E
	v_mfma_f32_16x16x16_f16 a[128:131], a[104:105], v[84:85], a[128:131]// 000000009128: D3CD8080 0E02A968
	ds_write_b32 v15, v104 offset:13056                        // 000000009130: D81A3300 0000680F
	v_mfma_f32_16x16x16_f16 a[132:135], a[106:107], v[84:85], a[132:135]// 000000009138: D3CD8084 0E12A96A
	v_mfma_f32_16x16x16_f16 a[136:139], a[108:109], v[84:85], a[136:139]// 000000009140: D3CD8088 0E22A96C
	ds_write_b32 v15, v105 offset:14112                        // 000000009148: D81A3720 0000690F
	v_mfma_f32_16x16x16_f16 a[140:143], a[110:111], v[84:85], a[140:143]// 000000009150: D3CD808C 0E32A96E
	buffer_atomic_add_f32 v159, v7, s[32:35], 0 idxen offset:128// 000000009158: E1342080 80089F07
	v_mfma_f32_16x16x16_f16 a[144:147], a[104:105], v[86:87], a[144:147]// 000000009160: D3CD8090 0E42AD68
	ds_write_b32 v15, v106 offset:15232                        // 000000009168: D81A3B80 00006A0F
	v_mfma_f32_16x16x16_f16 a[148:151], a[106:107], v[86:87], a[148:151]// 000000009170: D3CD8094 0E52AD6A
	v_mfma_f32_16x16x16_f16 a[152:155], a[108:109], v[86:87], a[152:155]// 000000009178: D3CD8098 0E62AD6C
	ds_write_b32 v15, v107 offset:16288                        // 000000009180: D81A3FA0 00006B0F
	v_mfma_f32_16x16x16_f16 a[156:159], a[110:111], v[86:87], a[156:159]// 000000009188: D3CD809C 0E72AD6E
	s_waitcnt vmcnt(8) lgkmcnt(4)                              // 000000009190: BF8C0478
	s_barrier                                                  // 000000009194: BF8A0000
	v_mfma_f32_16x16x16_f16 v[148:151], v[52:53], a[24:25], 0  // 000000009198: D3CD0094 12023134
	ds_read_b128 a[96:99], v12                                 // 0000000091A0: DBFE0000 6000000C
	buffer_load_dword v36, v1, s[8:11], 0 idxen                // 0000000091A8: E0502000 80022401
	v_mfma_f32_16x16x16_f16 v[148:151], v[54:55], a[28:29], v[148:151]// 0000000091B0: D3CD0094 16523936
	v_mul_f32_e32 v140, s48, v140                              // 0000000091B8: 0B191830
	v_mul_f32_e32 v144, s48, v144                              // 0000000091BC: 0B212030
	s_nop 0                                                    // 0000000091C0: BF800000
	v_mfma_f32_16x16x16_f16 v[148:151], v[56:57], a[32:33], v[148:151]// 0000000091C4: D3CD0094 16524138
	ds_read_b128 a[100:103], v12 offset:512                    // 0000000091CC: DBFE0200 6400000C
	buffer_load_dword v37, v2, s[8:11], 0 idxen                // 0000000091D4: E0502000 80022502
	v_mfma_f32_16x16x16_f16 v[148:151], v[58:59], a[36:37], v[148:151]// 0000000091DC: D3CD0094 1652493A
	v_mfma_f32_16x16x16_f16 v[148:151], v[60:61], a[40:41], v[148:151]// 0000000091E4: D3CD0094 1652513C
	ds_read_b128 a[104:107], v12 offset:2176                   // 0000000091EC: DBFE0880 6800000C
	buffer_load_dword v38, v3, s[8:11], 0 idxen                // 0000000091F4: E0502000 80022603
	v_mfma_f32_16x16x16_f16 v[148:151], v[62:63], a[44:45], v[148:151]// 0000000091FC: D3CD0094 1652593E
	v_perm_b32 v100, v41, v40, s63                             // 000000009204: D1ED0064 00FE5129
	v_perm_b32 v101, v41, v40, s64                             // 00000000920C: D1ED0065 01025129
	v_mfma_f32_16x16x16_f16 v[148:151], v[64:65], a[48:49], v[148:151]// 000000009214: D3CD0094 16526140
	ds_read_b128 a[108:111], v12 offset:2688                   // 00000000921C: DBFE0A80 6C00000C
	buffer_load_dword v39, v4, s[8:11], 0 idxen                // 000000009224: E0502000 80022704
	v_mfma_f32_16x16x16_f16 v[148:151], v[66:67], a[52:53], v[148:151]// 00000000922C: D3CD0094 16526942
	v_perm_b32 v102, v43, v42, s63                             // 000000009234: D1ED0066 00FE552B
	v_perm_b32 v103, v43, v42, s64                             // 00000000923C: D1ED0067 0102552B
	v_mfma_f32_16x16x16_f16 v[148:151], v[68:69], a[56:57], v[148:151]// 000000009244: D3CD0094 16527144
	ds_read_b128 v[108:111], v12 offset:8704                   // 00000000924C: D9FE2200 6C00000C
	buffer_load_dword v44, v228, s[20:23], 0 idxen             // 000000009254: E0502000 80052CE4
	v_mfma_f32_16x16x16_f16 v[148:151], v[70:71], a[60:61], v[148:151]// 00000000925C: D3CD0094 16527946
	v_perm_b32 v104, v49, v48, s63                             // 000000009264: D1ED0068 00FE6131
	v_perm_b32 v105, v49, v48, s64                             // 00000000926C: D1ED0069 01026131
	v_mfma_f32_16x16x16_f16 v[148:151], v[72:73], a[64:65], v[148:151]// 000000009274: D3CD0094 16528148
	ds_read_b128 v[112:115], v12 offset:9216                   // 00000000927C: D9FE2400 7000000C
	buffer_load_dword v45, v229, s[20:23], 0 idxen             // 000000009284: E0502000 80052DE5
	v_mfma_f32_16x16x16_f16 v[148:151], v[74:75], a[68:69], v[148:151]// 00000000928C: D3CD0094 1652894A
	v_perm_b32 v106, v51, v50, s63                             // 000000009294: D1ED006A 00FE6533
	v_perm_b32 v107, v51, v50, s64                             // 00000000929C: D1ED006B 01026533
	v_mfma_f32_16x16x16_f16 v[152:155], v[52:53], a[26:27], 0  // 0000000092A4: D3CD0098 12023534
	ds_read_b128 v[116:119], v12 offset:10880                  // 0000000092AC: D9FE2A80 7400000C
	buffer_load_dword v46, v230, s[20:23], 0 idxen             // 0000000092B4: E0502000 80052EE6
	v_mfma_f32_16x16x16_f16 v[152:155], v[54:55], a[30:31], v[152:155]// 0000000092BC: D3CD0098 16623D36
	v_mov_b32_dpp v143, v140 quad_perm:[3,3,3,3] row_mask:0xf bank_mask:0xf// 0000000092C4: 7F1E02FA FF00FF8C
	v_mov_b32_dpp v142, v140 quad_perm:[2,2,2,2] row_mask:0xf bank_mask:0xf// 0000000092CC: 7F1C02FA FF00AA8C
	v_mov_b32_dpp v141, v140 quad_perm:[1,1,1,1] row_mask:0xf bank_mask:0xf// 0000000092D4: 7F1A02FA FF00558C
	v_mov_b32_dpp v140, v140 quad_perm:[0,0,0,0] row_mask:0xf bank_mask:0xf// 0000000092DC: 7F1802FA FF00008C
	v_mfma_f32_16x16x16_f16 v[152:155], v[56:57], a[34:35], v[152:155]// 0000000092E4: D3CD0098 16624538
	ds_read_b128 v[120:123], v12 offset:11392                  // 0000000092EC: D9FE2C80 7800000C
	buffer_load_dword v47, v231, s[20:23], 0 idxen             // 0000000092F4: E0502000 80052FE7
	v_mfma_f32_16x16x16_f16 v[152:155], v[58:59], a[38:39], v[152:155]// 0000000092FC: D3CD0098 16624D3A
	v_mov_b32_dpp v147, v144 quad_perm:[3,3,3,3] row_mask:0xf bank_mask:0xf// 000000009304: 7F2602FA FF00FF90
	v_mov_b32_dpp v146, v144 quad_perm:[2,2,2,2] row_mask:0xf bank_mask:0xf// 00000000930C: 7F2402FA FF00AA90
	v_mov_b32_dpp v145, v144 quad_perm:[1,1,1,1] row_mask:0xf bank_mask:0xf// 000000009314: 7F2202FA FF005590
	v_mov_b32_dpp v144, v144 quad_perm:[0,0,0,0] row_mask:0xf bank_mask:0xf// 00000000931C: 7F2002FA FF000090
	s_add_u32 s60, 0x80, s59                                   // 000000009324: 803C3BFF 00000080
	v_mfma_f32_16x16x16_f16 v[152:155], v[60:61], a[42:43], v[152:155]// 00000000932C: D3CD0098 1662553C
	buffer_load_dword v11, s[24:27], 0 idxen lds               // 000000009334: E0512000 8006000B
	v_mfma_f32_16x16x16_f16 v[152:155], v[62:63], a[46:47], v[152:155]// 00000000933C: D3CD0098 16625D3E
	s_cmp_lt_u32 s60, s58                                      // 000000009344: BF0A3A3C
	s_cselect_b32 s68, s68, 0                                  // 000000009348: 85448044
	s_cselect_b32 s99, s99, 0                                  // 00000000934C: 85638063
	s_cselect_b32 s69, s69, 0                                  // 000000009350: 85458045
	v_mfma_f32_16x16x16_f16 v[152:155], v[64:65], a[50:51], v[152:155]// 000000009354: D3CD0098 16626540
	v_add_u32_e32 v1, s68, v1                                  // 00000000935C: 68020244
	v_add_u32_e32 v2, s68, v2                                  // 000000009360: 68040444
	v_add_u32_e32 v3, s68, v3                                  // 000000009364: 68060644
	;; [unrolled: 1-line block ×3, first 2 shown]
	v_mfma_f32_16x16x16_f16 v[152:155], v[66:67], a[54:55], v[152:155]// 00000000936C: D3CD0098 16626D42
	v_add_u32_e32 v228, s99, v228                              // 000000009374: 69C9C863
	v_add_u32_e32 v229, s99, v229                              // 000000009378: 69CBCA63
	v_add_u32_e32 v230, s99, v230                              // 00000000937C: 69CDCC63
	v_add_u32_e32 v231, s99, v231                              // 000000009380: 69CFCE63
	v_mfma_f32_16x16x16_f16 v[152:155], v[68:69], a[58:59], v[152:155]// 000000009384: D3CD0098 16627544
	s_mov_b32 m0, s79                                          // 00000000938C: BEFC004F
	v_add_u32_e32 v11, s69, v11                                // 000000009390: 68161645
	v_mfma_f32_16x16x16_f16 v[152:155], v[70:71], a[62:63], v[152:155]// 000000009394: D3CD0098 16627D46
	s_cmp_ge_u32 s59, s73                                      // 00000000939C: BF09493B
	s_cselect_b32 s66, s67, s66                                // 0000000093A0: 85424243
	v_mfma_f32_16x16x16_f16 v[152:155], v[72:73], a[66:67], v[152:155]// 0000000093A4: D3CD0098 16628548
	s_addk_i32 s59, 0x20                                       // 0000000093AC: B73B0020
	s_nop 0                                                    // 0000000093B0: BF800000
	s_cmp_lt_i32 s59, s58                                      // 0000000093B4: BF043A3B
	v_mfma_f32_16x16x16_f16 v[152:155], v[74:75], a[70:71], v[152:155]// 0000000093B8: D3CD0098 16628D4A
	s_cbranch_scc0 label_0DF8                                  // 0000000093C0: BF84F875
	s_branch label_0DFB                                        // 0000000093C4: BF82F877

00000000000093c8 <label_1596>:
	buffer_atomic_add_f32 v160, v8, s[32:35], 0 idxen          // 0000000093C8: E1342000 8008A008
	buffer_atomic_add_f32 v161, v9, s[32:35], 0 idxen          // 0000000093D0: E1342000 8008A109
	buffer_atomic_add_f32 v162, v8, s[32:35], 0 idxen offset:128// 0000000093D8: E1342080 8008A208
	buffer_atomic_add_f32 v163, v9, s[32:35], 0 idxen offset:128// 0000000093E0: E1342080 8008A309
	v_add_u32_e32 v6, s66, v6                                  // 0000000093E8: 680C0C42
	v_add_u32_e32 v7, s66, v7                                  // 0000000093EC: 680E0E42
	v_add_u32_e32 v8, s66, v8                                  // 0000000093F0: 68101042
	v_add_u32_e32 v9, s66, v9                                  // 0000000093F4: 68121242
	v_lshrrev_b32_e32 v32, 5, v0                               // 0000000093F8: 20400085
	v_mul_i32_i24_e32 v27, 0x44, v32                           // 0000000093FC: 0C3640FF 00000044
	v_and_b32_e32 v32, 31, v0                                  // 000000009404: 2640009F
	v_mul_i32_i24_e32 v33, 2, v32                              // 000000009408: 0C424082
	v_add_u32_e32 v27, v33, v27                                // 00000000940C: 68363721
	s_mul_i32 s60, s46, 0x220                                  // 000000009410: 923CFF2E 00000220
	v_add_u32_e32 v27, s60, v27                                // 000000009418: 6836363C
	v_lshlrev_b32_e32 v27, 2, v27                              // 00000000941C: 24363682
	v_mul_f32_e32 v148, s47, v148                              // 000000009420: 0B29282F
	v_mul_f32_e32 v149, s47, v149                              // 000000009424: 0B2B2A2F
	v_mul_f32_e32 v150, s47, v150                              // 000000009428: 0B2D2C2F
	v_mul_f32_e32 v151, s47, v151                              // 00000000942C: 0B2F2E2F
	v_mul_f32_e32 v152, s47, v152                              // 000000009430: 0B31302F
	v_mul_f32_e32 v153, s47, v153                              // 000000009434: 0B33322F
	v_mul_f32_e32 v154, s47, v154                              // 000000009438: 0B35342F
	v_mul_f32_e32 v155, s47, v155                              // 00000000943C: 0B37362F
	ds_write_b64 v22, v[148:149] offset:31232                  // 000000009440: D89A7A00 00009416
	ds_write_b64 v22, v[150:151] offset:31744                  // 000000009448: D89A7C00 00009616
	ds_write_b64 v22, v[152:153] offset:32256                  // 000000009450: D89A7E00 00009816
	ds_write_b64 v22, v[154:155] offset:32768                  // 000000009458: D89A8000 00009A16
	s_waitcnt lgkmcnt(0)                                       // 000000009460: BF8CC07F
	s_barrier                                                  // 000000009464: BF8A0000
	ds_read_b64 v[156:157], v21 offset:31232                   // 000000009468: D8EC7A00 9C000015
	ds_read_b64 v[158:159], v21 offset:33280                   // 000000009470: D8EC8200 9E000015
	ds_read_b64 v[160:161], v21 offset:35328                   // 000000009478: D8EC8A00 A0000015
	ds_read_b64 v[162:163], v21 offset:37376                   // 000000009480: D8EC9200 A2000015
	s_waitcnt lgkmcnt(0)                                       // 000000009488: BF8CC07F
	s_barrier                                                  // 00000000948C: BF8A0000
	buffer_atomic_add_f32 v156, v6, s[32:35], 0 idxen          // 000000009490: E1342000 80089C06
	buffer_atomic_add_f32 v157, v7, s[32:35], 0 idxen          // 000000009498: E1342000 80089D07
	buffer_atomic_add_f32 v158, v6, s[32:35], 0 idxen offset:128// 0000000094A0: E1342080 80089E06
	buffer_atomic_add_f32 v159, v7, s[32:35], 0 idxen offset:128// 0000000094A8: E1342080 80089F07
	buffer_atomic_add_f32 v160, v8, s[32:35], 0 idxen          // 0000000094B0: E1342000 8008A008
	buffer_atomic_add_f32 v161, v9, s[32:35], 0 idxen          // 0000000094B8: E1342000 8008A109
	buffer_atomic_add_f32 v162, v8, s[32:35], 0 idxen offset:128// 0000000094C0: E1342080 8008A208
	buffer_atomic_add_f32 v163, v9, s[32:35], 0 idxen offset:128// 0000000094C8: E1342080 8008A309
	v_lshrrev_b32_e32 v32, 3, v0                               // 0000000094D0: 20400083
	v_mul_i32_i24_e32 v26, 2, v32                              // 0000000094D4: 0C344082
	v_and_b32_e32 v32, 7, v0                                   // 0000000094D8: 26400087
	v_mul_i32_i24_e32 v33, 0x44, v32                           // 0000000094DC: 0C4240FF 00000044
	v_add_u32_e32 v26, v33, v26                                // 0000000094E4: 68343521
	s_mul_i32 s60, s46, 0x220                                  // 0000000094E8: 923CFF2E 00000220
	v_add_u32_e32 v26, s60, v26                                // 0000000094F0: 6834343C
	v_lshlrev_b32_e32 v26, 2, v26                              // 0000000094F4: 24343482
	v_accvgpr_read_b32 v32, a112                               // 0000000094F8: D3D84020 18000170
	v_accvgpr_read_b32 v33, a113                               // 000000009500: D3D84021 18000171
	v_mul_f32_e32 v32, s47, v32                                // 000000009508: 0A40402F
	v_mul_f32_e32 v33, s47, v33                                // 00000000950C: 0A42422F
	v_cvt_pkrtz_f16_f32 v52, v32, v33                          // 000000009510: D2960034 00024320
	v_accvgpr_read_b32 v32, a114                               // 000000009518: D3D84020 18000172
	v_accvgpr_read_b32 v33, a115                               // 000000009520: D3D84021 18000173
	v_mul_f32_e32 v32, s47, v32                                // 000000009528: 0A40402F
	v_mul_f32_e32 v33, s47, v33                                // 00000000952C: 0A42422F
	v_cvt_pkrtz_f16_f32 v53, v32, v33                          // 000000009530: D2960035 00024320
	v_accvgpr_read_b32 v32, a116                               // 000000009538: D3D84020 18000174
	v_accvgpr_read_b32 v33, a117                               // 000000009540: D3D84021 18000175
	v_mul_f32_e32 v32, s47, v32                                // 000000009548: 0A40402F
	v_mul_f32_e32 v33, s47, v33                                // 00000000954C: 0A42422F
	v_cvt_pkrtz_f16_f32 v54, v32, v33                          // 000000009550: D2960036 00024320
	v_accvgpr_read_b32 v32, a118                               // 000000009558: D3D84020 18000176
	v_accvgpr_read_b32 v33, a119                               // 000000009560: D3D84021 18000177
	v_mul_f32_e32 v32, s47, v32                                // 000000009568: 0A40402F
	v_mul_f32_e32 v33, s47, v33                                // 00000000956C: 0A42422F
	v_cvt_pkrtz_f16_f32 v55, v32, v33                          // 000000009570: D2960037 00024320
	v_accvgpr_read_b32 v32, a120                               // 000000009578: D3D84020 18000178
	v_accvgpr_read_b32 v33, a121                               // 000000009580: D3D84021 18000179
	v_mul_f32_e32 v32, s47, v32                                // 000000009588: 0A40402F
	v_mul_f32_e32 v33, s47, v33                                // 00000000958C: 0A42422F
	v_cvt_pkrtz_f16_f32 v56, v32, v33                          // 000000009590: D2960038 00024320
	v_accvgpr_read_b32 v32, a122                               // 000000009598: D3D84020 1800017A
	v_accvgpr_read_b32 v33, a123                               // 0000000095A0: D3D84021 1800017B
	v_mul_f32_e32 v32, s47, v32                                // 0000000095A8: 0A40402F
	v_mul_f32_e32 v33, s47, v33                                // 0000000095AC: 0A42422F
	v_cvt_pkrtz_f16_f32 v57, v32, v33                          // 0000000095B0: D2960039 00024320
	v_accvgpr_read_b32 v32, a124                               // 0000000095B8: D3D84020 1800017C
	v_accvgpr_read_b32 v33, a125                               // 0000000095C0: D3D84021 1800017D
	v_mul_f32_e32 v32, s47, v32                                // 0000000095C8: 0A40402F
	v_mul_f32_e32 v33, s47, v33                                // 0000000095CC: 0A42422F
	v_cvt_pkrtz_f16_f32 v58, v32, v33                          // 0000000095D0: D296003A 00024320
	v_accvgpr_read_b32 v32, a126                               // 0000000095D8: D3D84020 1800017E
	v_accvgpr_read_b32 v33, a127                               // 0000000095E0: D3D84021 1800017F
	v_mul_f32_e32 v32, s47, v32                                // 0000000095E8: 0A40402F
	v_mul_f32_e32 v33, s47, v33                                // 0000000095EC: 0A42422F
	v_cvt_pkrtz_f16_f32 v59, v32, v33                          // 0000000095F0: D296003B 00024320
	ds_write_b64 v27, v[52:53]                                 // 0000000095F8: D89A0000 0000341B
	ds_write_b64 v27, v[54:55] offset:544                      // 000000009600: D89A0220 0000361B
	ds_write_b64 v27, v[56:57] offset:1088                     // 000000009608: D89A0440 0000381B
	ds_write_b64 v27, v[58:59] offset:1632                     // 000000009610: D89A0660 00003A1B
	s_waitcnt lgkmcnt(0)                                       // 000000009618: BF8CC07F
	s_barrier                                                  // 00000000961C: BF8A0000
	ds_read_b64 v[52:53], v26                                  // 000000009620: D8EC0000 3400001A
	ds_read_b64 v[54:55], v26 offset:128                       // 000000009628: D8EC0080 3600001A
	ds_read_b64 v[56:57], v26 offset:64                        // 000000009630: D8EC0040 3800001A
	ds_read_b64 v[58:59], v26 offset:192                       // 000000009638: D8EC00C0 3A00001A
	s_waitcnt lgkmcnt(0)                                       // 000000009640: BF8CC07F
	s_mov_b32 s70, s52                                         // 000000009644: BEC60034
	buffer_store_dwordx4 v[52:55], v5, s[36:39], 0 idxen       // 000000009648: E07C2000 80093405
	s_mul_i32 s60, 2, s70                                      // 000000009650: 923C4682
	v_add_u32_e32 v5, s60, v5                                  // 000000009654: 680A0A3C
	buffer_store_dwordx4 v[56:59], v5, s[36:39], 0 idxen       // 000000009658: E07C2000 80093805
	s_mul_i32 s60, 2, s70                                      // 000000009660: 923C4682
	v_add_u32_e32 v5, s60, v5                                  // 000000009664: 680A0A3C
	s_mul_i32 s60, 12, s70                                     // 000000009668: 923C468C
	v_add_u32_e32 v5, s60, v5                                  // 00000000966C: 680A0A3C
	s_barrier                                                  // 000000009670: BF8A0000
	s_cmp_ge_i32 1, s72                                        // 000000009674: BF034881
	s_cbranch_scc1 label_1705                                  // 000000009678: BF8500C2
	v_accvgpr_read_b32 v32, a128                               // 00000000967C: D3D84020 18000180
	v_accvgpr_read_b32 v33, a129                               // 000000009684: D3D84021 18000181
	v_mul_f32_e32 v32, s47, v32                                // 00000000968C: 0A40402F
	v_mul_f32_e32 v33, s47, v33                                // 000000009690: 0A42422F
	v_cvt_pkrtz_f16_f32 v60, v32, v33                          // 000000009694: D296003C 00024320
	v_accvgpr_read_b32 v32, a130                               // 00000000969C: D3D84020 18000182
	v_accvgpr_read_b32 v33, a131                               // 0000000096A4: D3D84021 18000183
	v_mul_f32_e32 v32, s47, v32                                // 0000000096AC: 0A40402F
	v_mul_f32_e32 v33, s47, v33                                // 0000000096B0: 0A42422F
	v_cvt_pkrtz_f16_f32 v61, v32, v33                          // 0000000096B4: D296003D 00024320
	v_accvgpr_read_b32 v32, a132                               // 0000000096BC: D3D84020 18000184
	v_accvgpr_read_b32 v33, a133                               // 0000000096C4: D3D84021 18000185
	v_mul_f32_e32 v32, s47, v32                                // 0000000096CC: 0A40402F
	v_mul_f32_e32 v33, s47, v33                                // 0000000096D0: 0A42422F
	v_cvt_pkrtz_f16_f32 v62, v32, v33                          // 0000000096D4: D296003E 00024320
	v_accvgpr_read_b32 v32, a134                               // 0000000096DC: D3D84020 18000186
	v_accvgpr_read_b32 v33, a135                               // 0000000096E4: D3D84021 18000187
	v_mul_f32_e32 v32, s47, v32                                // 0000000096EC: 0A40402F
	v_mul_f32_e32 v33, s47, v33                                // 0000000096F0: 0A42422F
	v_cvt_pkrtz_f16_f32 v63, v32, v33                          // 0000000096F4: D296003F 00024320
	v_accvgpr_read_b32 v32, a136                               // 0000000096FC: D3D84020 18000188
	v_accvgpr_read_b32 v33, a137                               // 000000009704: D3D84021 18000189
	v_mul_f32_e32 v32, s47, v32                                // 00000000970C: 0A40402F
	v_mul_f32_e32 v33, s47, v33                                // 000000009710: 0A42422F
	v_cvt_pkrtz_f16_f32 v64, v32, v33                          // 000000009714: D2960040 00024320
	v_accvgpr_read_b32 v32, a138                               // 00000000971C: D3D84020 1800018A
	v_accvgpr_read_b32 v33, a139                               // 000000009724: D3D84021 1800018B
	v_mul_f32_e32 v32, s47, v32                                // 00000000972C: 0A40402F
	v_mul_f32_e32 v33, s47, v33                                // 000000009730: 0A42422F
	v_cvt_pkrtz_f16_f32 v65, v32, v33                          // 000000009734: D2960041 00024320
	v_accvgpr_read_b32 v32, a140                               // 00000000973C: D3D84020 1800018C
	v_accvgpr_read_b32 v33, a141                               // 000000009744: D3D84021 1800018D
	v_mul_f32_e32 v32, s47, v32                                // 00000000974C: 0A40402F
	v_mul_f32_e32 v33, s47, v33                                // 000000009750: 0A42422F
	v_cvt_pkrtz_f16_f32 v66, v32, v33                          // 000000009754: D2960042 00024320
	v_accvgpr_read_b32 v32, a142                               // 00000000975C: D3D84020 1800018E
	v_accvgpr_read_b32 v33, a143                               // 000000009764: D3D84021 1800018F
	v_mul_f32_e32 v32, s47, v32                                // 00000000976C: 0A40402F
	v_mul_f32_e32 v33, s47, v33                                // 000000009770: 0A42422F
	v_cvt_pkrtz_f16_f32 v67, v32, v33                          // 000000009774: D2960043 00024320
	ds_write_b64 v27, v[60:61] offset:8704                     // 00000000977C: D89A2200 00003C1B
	ds_write_b64 v27, v[62:63] offset:9248                     // 000000009784: D89A2420 00003E1B
	ds_write_b64 v27, v[64:65] offset:9792                     // 00000000978C: D89A2640 0000401B
	ds_write_b64 v27, v[66:67] offset:10336                    // 000000009794: D89A2860 0000421B
	s_waitcnt lgkmcnt(0)                                       // 00000000979C: BF8CC07F
	s_barrier                                                  // 0000000097A0: BF8A0000
	ds_read_b64 v[60:61], v26 offset:8704                      // 0000000097A4: D8EC2200 3C00001A
	ds_read_b64 v[62:63], v26 offset:8832                      // 0000000097AC: D8EC2280 3E00001A
	ds_read_b64 v[64:65], v26 offset:8768                      // 0000000097B4: D8EC2240 4000001A
	ds_read_b64 v[66:67], v26 offset:8896                      // 0000000097BC: D8EC22C0 4200001A
	s_waitcnt lgkmcnt(0)                                       // 0000000097C4: BF8CC07F
	s_mov_b32 s70, s52                                         // 0000000097C8: BEC60034
	buffer_store_dwordx4 v[60:63], v5, s[36:39], 0 idxen       // 0000000097CC: E07C2000 80093C05
	s_mul_i32 s60, 2, s70                                      // 0000000097D4: 923C4682
	v_add_u32_e32 v5, s60, v5                                  // 0000000097D8: 680A0A3C
	buffer_store_dwordx4 v[64:67], v5, s[36:39], 0 idxen       // 0000000097DC: E07C2000 80094005
	s_mul_i32 s60, 2, s70                                      // 0000000097E4: 923C4682
	v_add_u32_e32 v5, s60, v5                                  // 0000000097E8: 680A0A3C
	s_mul_i32 s60, 12, s70                                     // 0000000097EC: 923C468C
	v_add_u32_e32 v5, s60, v5                                  // 0000000097F0: 680A0A3C
	s_barrier                                                  // 0000000097F4: BF8A0000
	s_cmp_ge_i32 2, s72                                        // 0000000097F8: BF034882
	s_cbranch_scc1 label_1705                                  // 0000000097FC: BF850061
	v_accvgpr_read_b32 v32, a144                               // 000000009800: D3D84020 18000190
	v_accvgpr_read_b32 v33, a145                               // 000000009808: D3D84021 18000191
	v_mul_f32_e32 v32, s47, v32                                // 000000009810: 0A40402F
	v_mul_f32_e32 v33, s47, v33                                // 000000009814: 0A42422F
	v_cvt_pkrtz_f16_f32 v68, v32, v33                          // 000000009818: D2960044 00024320
	v_accvgpr_read_b32 v32, a146                               // 000000009820: D3D84020 18000192
	v_accvgpr_read_b32 v33, a147                               // 000000009828: D3D84021 18000193
	v_mul_f32_e32 v32, s47, v32                                // 000000009830: 0A40402F
	v_mul_f32_e32 v33, s47, v33                                // 000000009834: 0A42422F
	v_cvt_pkrtz_f16_f32 v69, v32, v33                          // 000000009838: D2960045 00024320
	v_accvgpr_read_b32 v32, a148                               // 000000009840: D3D84020 18000194
	v_accvgpr_read_b32 v33, a149                               // 000000009848: D3D84021 18000195
	v_mul_f32_e32 v32, s47, v32                                // 000000009850: 0A40402F
	v_mul_f32_e32 v33, s47, v33                                // 000000009854: 0A42422F
	v_cvt_pkrtz_f16_f32 v70, v32, v33                          // 000000009858: D2960046 00024320
	v_accvgpr_read_b32 v32, a150                               // 000000009860: D3D84020 18000196
	v_accvgpr_read_b32 v33, a151                               // 000000009868: D3D84021 18000197
	v_mul_f32_e32 v32, s47, v32                                // 000000009870: 0A40402F
	v_mul_f32_e32 v33, s47, v33                                // 000000009874: 0A42422F
	v_cvt_pkrtz_f16_f32 v71, v32, v33                          // 000000009878: D2960047 00024320
	v_accvgpr_read_b32 v32, a152                               // 000000009880: D3D84020 18000198
	v_accvgpr_read_b32 v33, a153                               // 000000009888: D3D84021 18000199
	v_mul_f32_e32 v32, s47, v32                                // 000000009890: 0A40402F
	v_mul_f32_e32 v33, s47, v33                                // 000000009894: 0A42422F
	v_cvt_pkrtz_f16_f32 v72, v32, v33                          // 000000009898: D2960048 00024320
	v_accvgpr_read_b32 v32, a154                               // 0000000098A0: D3D84020 1800019A
	v_accvgpr_read_b32 v33, a155                               // 0000000098A8: D3D84021 1800019B
	v_mul_f32_e32 v32, s47, v32                                // 0000000098B0: 0A40402F
	v_mul_f32_e32 v33, s47, v33                                // 0000000098B4: 0A42422F
	v_cvt_pkrtz_f16_f32 v73, v32, v33                          // 0000000098B8: D2960049 00024320
	v_accvgpr_read_b32 v32, a156                               // 0000000098C0: D3D84020 1800019C
	v_accvgpr_read_b32 v33, a157                               // 0000000098C8: D3D84021 1800019D
	v_mul_f32_e32 v32, s47, v32                                // 0000000098D0: 0A40402F
	v_mul_f32_e32 v33, s47, v33                                // 0000000098D4: 0A42422F
	v_cvt_pkrtz_f16_f32 v74, v32, v33                          // 0000000098D8: D296004A 00024320
	v_accvgpr_read_b32 v32, a158                               // 0000000098E0: D3D84020 1800019E
	v_accvgpr_read_b32 v33, a159                               // 0000000098E8: D3D84021 1800019F
	v_mul_f32_e32 v32, s47, v32                                // 0000000098F0: 0A40402F
	v_mul_f32_e32 v33, s47, v33                                // 0000000098F4: 0A42422F
	v_cvt_pkrtz_f16_f32 v75, v32, v33                          // 0000000098F8: D296004B 00024320
	ds_write_b64 v27, v[68:69] offset:17408                    // 000000009900: D89A4400 0000441B
	ds_write_b64 v27, v[70:71] offset:17952                    // 000000009908: D89A4620 0000461B
	ds_write_b64 v27, v[72:73] offset:18496                    // 000000009910: D89A4840 0000481B
	ds_write_b64 v27, v[74:75] offset:19040                    // 000000009918: D89A4A60 00004A1B
	s_waitcnt lgkmcnt(0)                                       // 000000009920: BF8CC07F
	s_barrier                                                  // 000000009924: BF8A0000
	ds_read_b64 v[68:69], v26 offset:17408                     // 000000009928: D8EC4400 4400001A
	ds_read_b64 v[70:71], v26 offset:17536                     // 000000009930: D8EC4480 4600001A
	ds_read_b64 v[72:73], v26 offset:17472                     // 000000009938: D8EC4440 4800001A
	ds_read_b64 v[74:75], v26 offset:17600                     // 000000009940: D8EC44C0 4A00001A
	s_waitcnt lgkmcnt(0)                                       // 000000009948: BF8CC07F
	s_mov_b32 s70, s52                                         // 00000000994C: BEC60034
	buffer_store_dwordx4 v[68:71], v5, s[36:39], 0 idxen       // 000000009950: E07C2000 80094405
	s_mul_i32 s60, 2, s70                                      // 000000009958: 923C4682
	v_add_u32_e32 v5, s60, v5                                  // 00000000995C: 680A0A3C
	buffer_store_dwordx4 v[72:75], v5, s[36:39], 0 idxen       // 000000009960: E07C2000 80094805
	s_mul_i32 s60, 2, s70                                      // 000000009968: 923C4682
	v_add_u32_e32 v5, s60, v5                                  // 00000000996C: 680A0A3C
	s_mul_i32 s60, 12, s70                                     // 000000009970: 923C468C
	v_add_u32_e32 v5, s60, v5                                  // 000000009974: 680A0A3C
	s_barrier                                                  // 000000009978: BF8A0000
	s_cmp_ge_i32 3, s72                                        // 00000000997C: BF034883
	s_cbranch_scc1 label_1705                                  // 000000009980: BF850000

0000000000009984 <label_1705>:
	v_mov_b32_e32 v32, v180                                    // 000000009984: 7E4003B4
	v_mov_b32_e32 v33, v181                                    // 000000009988: 7E4203B5
	v_cvt_pkrtz_f16_f32 v180, v32, v33                         // 00000000998C: D29600B4 00024320
	v_mov_b32_e32 v32, v182                                    // 000000009994: 7E4003B6
	v_mov_b32_e32 v33, v183                                    // 000000009998: 7E4203B7
	v_cvt_pkrtz_f16_f32 v181, v32, v33                         // 00000000999C: D29600B5 00024320
	v_mov_b32_e32 v32, v184                                    // 0000000099A4: 7E4003B8
	v_mov_b32_e32 v33, v185                                    // 0000000099A8: 7E4203B9
	v_cvt_pkrtz_f16_f32 v182, v32, v33                         // 0000000099AC: D29600B6 00024320
	v_mov_b32_e32 v32, v186                                    // 0000000099B4: 7E4003BA
	v_mov_b32_e32 v33, v187                                    // 0000000099B8: 7E4203BB
	v_cvt_pkrtz_f16_f32 v183, v32, v33                         // 0000000099BC: D29600B7 00024320
	v_mov_b32_e32 v32, v188                                    // 0000000099C4: 7E4003BC
	v_mov_b32_e32 v33, v189                                    // 0000000099C8: 7E4203BD
	v_cvt_pkrtz_f16_f32 v184, v32, v33                         // 0000000099CC: D29600B8 00024320
	v_mov_b32_e32 v32, v190                                    // 0000000099D4: 7E4003BE
	v_mov_b32_e32 v33, v191                                    // 0000000099D8: 7E4203BF
	v_cvt_pkrtz_f16_f32 v185, v32, v33                         // 0000000099DC: D29600B9 00024320
	v_mov_b32_e32 v32, v192                                    // 0000000099E4: 7E4003C0
	v_mov_b32_e32 v33, v193                                    // 0000000099E8: 7E4203C1
	v_cvt_pkrtz_f16_f32 v186, v32, v33                         // 0000000099EC: D29600BA 00024320
	v_mov_b32_e32 v32, v194                                    // 0000000099F4: 7E4003C2
	v_mov_b32_e32 v33, v195                                    // 0000000099F8: 7E4203C3
	v_cvt_pkrtz_f16_f32 v187, v32, v33                         // 0000000099FC: D29600BB 00024320
	ds_write_b64 v27, v[180:181]                               // 000000009A04: D89A0000 0000B41B
	ds_write_b64 v27, v[182:183] offset:544                    // 000000009A0C: D89A0220 0000B61B
	ds_write_b64 v27, v[184:185] offset:1088                   // 000000009A14: D89A0440 0000B81B
	ds_write_b64 v27, v[186:187] offset:1632                   // 000000009A1C: D89A0660 0000BA1B
	s_waitcnt lgkmcnt(0)                                       // 000000009A24: BF8CC07F
	s_barrier                                                  // 000000009A28: BF8A0000
	ds_read_b64 v[180:181], v26                                // 000000009A2C: D8EC0000 B400001A
	ds_read_b64 v[182:183], v26 offset:128                     // 000000009A34: D8EC0080 B600001A
	ds_read_b64 v[184:185], v26 offset:64                      // 000000009A3C: D8EC0040 B800001A
	ds_read_b64 v[186:187], v26 offset:192                     // 000000009A44: D8EC00C0 BA00001A
	s_waitcnt lgkmcnt(0)                                       // 000000009A4C: BF8CC07F
	s_mov_b32 s70, s53                                         // 000000009A50: BEC60035
	buffer_store_dwordx4 v[180:183], v10, s[40:43], 0 idxen    // 000000009A54: E07C2000 800AB40A
	s_mul_i32 s60, 2, s70                                      // 000000009A5C: 923C4682
	v_add_u32_e32 v10, s60, v10                                // 000000009A60: 6814143C
	buffer_store_dwordx4 v[184:187], v10, s[40:43], 0 idxen    // 000000009A64: E07C2000 800AB80A
	s_mul_i32 s60, 2, s70                                      // 000000009A6C: 923C4682
	v_add_u32_e32 v10, s60, v10                                // 000000009A70: 6814143C
	s_mul_i32 s60, 12, s70                                     // 000000009A74: 923C468C
	v_add_u32_e32 v10, s60, v10                                // 000000009A78: 6814143C
	s_cmp_ge_i32 1, s72                                        // 000000009A7C: BF034881
	s_cbranch_scc1 label_17C5                                  // 000000009A80: BF850080
	v_mov_b32_e32 v32, v196                                    // 000000009A84: 7E4003C4
	v_mov_b32_e32 v33, v197                                    // 000000009A88: 7E4203C5
	v_cvt_pkrtz_f16_f32 v188, v32, v33                         // 000000009A8C: D29600BC 00024320
	v_mov_b32_e32 v32, v198                                    // 000000009A94: 7E4003C6
	v_mov_b32_e32 v33, v199                                    // 000000009A98: 7E4203C7
	v_cvt_pkrtz_f16_f32 v189, v32, v33                         // 000000009A9C: D29600BD 00024320
	v_mov_b32_e32 v32, v200                                    // 000000009AA4: 7E4003C8
	v_mov_b32_e32 v33, v201                                    // 000000009AA8: 7E4203C9
	v_cvt_pkrtz_f16_f32 v190, v32, v33                         // 000000009AAC: D29600BE 00024320
	v_mov_b32_e32 v32, v202                                    // 000000009AB4: 7E4003CA
	v_mov_b32_e32 v33, v203                                    // 000000009AB8: 7E4203CB
	v_cvt_pkrtz_f16_f32 v191, v32, v33                         // 000000009ABC: D29600BF 00024320
	v_mov_b32_e32 v32, v204                                    // 000000009AC4: 7E4003CC
	v_mov_b32_e32 v33, v205                                    // 000000009AC8: 7E4203CD
	v_cvt_pkrtz_f16_f32 v192, v32, v33                         // 000000009ACC: D29600C0 00024320
	v_mov_b32_e32 v32, v206                                    // 000000009AD4: 7E4003CE
	v_mov_b32_e32 v33, v207                                    // 000000009AD8: 7E4203CF
	v_cvt_pkrtz_f16_f32 v193, v32, v33                         // 000000009ADC: D29600C1 00024320
	v_mov_b32_e32 v32, v208                                    // 000000009AE4: 7E4003D0
	v_mov_b32_e32 v33, v209                                    // 000000009AE8: 7E4203D1
	v_cvt_pkrtz_f16_f32 v194, v32, v33                         // 000000009AEC: D29600C2 00024320
	v_mov_b32_e32 v32, v210                                    // 000000009AF4: 7E4003D2
	v_mov_b32_e32 v33, v211                                    // 000000009AF8: 7E4203D3
	v_cvt_pkrtz_f16_f32 v195, v32, v33                         // 000000009AFC: D29600C3 00024320
	ds_write_b64 v27, v[188:189] offset:8704                   // 000000009B04: D89A2200 0000BC1B
	ds_write_b64 v27, v[190:191] offset:9248                   // 000000009B0C: D89A2420 0000BE1B
	ds_write_b64 v27, v[192:193] offset:9792                   // 000000009B14: D89A2640 0000C01B
	ds_write_b64 v27, v[194:195] offset:10336                  // 000000009B1C: D89A2860 0000C21B
	s_waitcnt lgkmcnt(0)                                       // 000000009B24: BF8CC07F
	s_barrier                                                  // 000000009B28: BF8A0000
	ds_read_b64 v[188:189], v26 offset:8704                    // 000000009B2C: D8EC2200 BC00001A
	ds_read_b64 v[190:191], v26 offset:8832                    // 000000009B34: D8EC2280 BE00001A
	ds_read_b64 v[192:193], v26 offset:8768                    // 000000009B3C: D8EC2240 C000001A
	ds_read_b64 v[194:195], v26 offset:8896                    // 000000009B44: D8EC22C0 C200001A
	s_waitcnt lgkmcnt(0)                                       // 000000009B4C: BF8CC07F
	s_mov_b32 s70, s53                                         // 000000009B50: BEC60035
	buffer_store_dwordx4 v[188:191], v10, s[40:43], 0 idxen    // 000000009B54: E07C2000 800ABC0A
	s_mul_i32 s60, 2, s70                                      // 000000009B5C: 923C4682
	v_add_u32_e32 v10, s60, v10                                // 000000009B60: 6814143C
	buffer_store_dwordx4 v[192:195], v10, s[40:43], 0 idxen    // 000000009B64: E07C2000 800AC00A
	s_mul_i32 s60, 2, s70                                      // 000000009B6C: 923C4682
	v_add_u32_e32 v10, s60, v10                                // 000000009B70: 6814143C
	s_mul_i32 s60, 12, s70                                     // 000000009B74: 923C468C
	v_add_u32_e32 v10, s60, v10                                // 000000009B78: 6814143C
	s_cmp_ge_i32 2, s72                                        // 000000009B7C: BF034882
	s_cbranch_scc1 label_17C5                                  // 000000009B80: BF850040
	v_mov_b32_e32 v32, v212                                    // 000000009B84: 7E4003D4
	v_mov_b32_e32 v33, v213                                    // 000000009B88: 7E4203D5
	v_cvt_pkrtz_f16_f32 v196, v32, v33                         // 000000009B8C: D29600C4 00024320
	v_mov_b32_e32 v32, v214                                    // 000000009B94: 7E4003D6
	v_mov_b32_e32 v33, v215                                    // 000000009B98: 7E4203D7
	v_cvt_pkrtz_f16_f32 v197, v32, v33                         // 000000009B9C: D29600C5 00024320
	v_mov_b32_e32 v32, v216                                    // 000000009BA4: 7E4003D8
	v_mov_b32_e32 v33, v217                                    // 000000009BA8: 7E4203D9
	v_cvt_pkrtz_f16_f32 v198, v32, v33                         // 000000009BAC: D29600C6 00024320
	v_mov_b32_e32 v32, v218                                    // 000000009BB4: 7E4003DA
	v_mov_b32_e32 v33, v219                                    // 000000009BB8: 7E4203DB
	v_cvt_pkrtz_f16_f32 v199, v32, v33                         // 000000009BBC: D29600C7 00024320
	v_mov_b32_e32 v32, v220                                    // 000000009BC4: 7E4003DC
	v_mov_b32_e32 v33, v221                                    // 000000009BC8: 7E4203DD
	v_cvt_pkrtz_f16_f32 v200, v32, v33                         // 000000009BCC: D29600C8 00024320
	v_mov_b32_e32 v32, v222                                    // 000000009BD4: 7E4003DE
	v_mov_b32_e32 v33, v223                                    // 000000009BD8: 7E4203DF
	v_cvt_pkrtz_f16_f32 v201, v32, v33                         // 000000009BDC: D29600C9 00024320
	v_mov_b32_e32 v32, v224                                    // 000000009BE4: 7E4003E0
	v_mov_b32_e32 v33, v225                                    // 000000009BE8: 7E4203E1
	v_cvt_pkrtz_f16_f32 v202, v32, v33                         // 000000009BEC: D29600CA 00024320
	v_mov_b32_e32 v32, v226                                    // 000000009BF4: 7E4003E2
	v_mov_b32_e32 v33, v227                                    // 000000009BF8: 7E4203E3
	v_cvt_pkrtz_f16_f32 v203, v32, v33                         // 000000009BFC: D29600CB 00024320
	ds_write_b64 v27, v[196:197] offset:17408                  // 000000009C04: D89A4400 0000C41B
	ds_write_b64 v27, v[198:199] offset:17952                  // 000000009C0C: D89A4620 0000C61B
	ds_write_b64 v27, v[200:201] offset:18496                  // 000000009C14: D89A4840 0000C81B
	ds_write_b64 v27, v[202:203] offset:19040                  // 000000009C1C: D89A4A60 0000CA1B
	s_waitcnt lgkmcnt(0)                                       // 000000009C24: BF8CC07F
	s_barrier                                                  // 000000009C28: BF8A0000
	ds_read_b64 v[196:197], v26 offset:17408                   // 000000009C2C: D8EC4400 C400001A
	ds_read_b64 v[198:199], v26 offset:17536                   // 000000009C34: D8EC4480 C600001A
	ds_read_b64 v[200:201], v26 offset:17472                   // 000000009C3C: D8EC4440 C800001A
	ds_read_b64 v[202:203], v26 offset:17600                   // 000000009C44: D8EC44C0 CA00001A
	s_waitcnt lgkmcnt(0)                                       // 000000009C4C: BF8CC07F
	s_mov_b32 s70, s53                                         // 000000009C50: BEC60035
	buffer_store_dwordx4 v[196:199], v10, s[40:43], 0 idxen    // 000000009C54: E07C2000 800AC40A
	s_mul_i32 s60, 2, s70                                      // 000000009C5C: 923C4682
	v_add_u32_e32 v10, s60, v10                                // 000000009C60: 6814143C
	buffer_store_dwordx4 v[200:203], v10, s[40:43], 0 idxen    // 000000009C64: E07C2000 800AC80A
	s_mul_i32 s60, 2, s70                                      // 000000009C6C: 923C4682
	v_add_u32_e32 v10, s60, v10                                // 000000009C70: 6814143C
	s_mul_i32 s60, 12, s70                                     // 000000009C74: 923C468C
	v_add_u32_e32 v10, s60, v10                                // 000000009C78: 6814143C
	s_cmp_ge_i32 3, s72                                        // 000000009C7C: BF034883
	s_cbranch_scc1 label_17C5                                  // 000000009C80: BF850000

0000000000009c84 <label_17C5>:
	s_waitcnt vmcnt(0) expcnt(0) lgkmcnt(0)                    // 000000009C84: BF8C0000
	s_sub_i32 s60, s77, 1                                      // 000000009C88: 81BC814D
	s_sub_i32 s2, s60, s2                                      // 000000009C8C: 8182023C
	s_addk_i32 s75, 0x1                                        // 000000009C90: B74B0001
	s_cmp_lt_i32 s75, s76                                      // 000000009C94: BF044C4B
	s_cbranch_scc1 label_014A                                  // 000000009C98: BF85E9A3
	s_endpgm                                                   // 000000009C9C: BF810000
